;; amdgpu-corpus repo=ROCm/rocFFT kind=compiled arch=gfx950 opt=O3
	.text
	.amdgcn_target "amdgcn-amd-amdhsa--gfx950"
	.amdhsa_code_object_version 6
	.protected	bluestein_single_fwd_len65_dim1_half_op_CI_CI ; -- Begin function bluestein_single_fwd_len65_dim1_half_op_CI_CI
	.globl	bluestein_single_fwd_len65_dim1_half_op_CI_CI
	.p2align	8
	.type	bluestein_single_fwd_len65_dim1_half_op_CI_CI,@function
bluestein_single_fwd_len65_dim1_half_op_CI_CI: ; @bluestein_single_fwd_len65_dim1_half_op_CI_CI
; %bb.0:
	s_load_dwordx4 s[8:11], s[0:1], 0x28
	v_mul_u32_u24_e32 v1, 0x13b2, v0
	v_lshrrev_b32_e32 v2, 16, v1
	v_mad_u64_u32 v[4:5], s[2:3], s2, 19, v[2:3]
	v_mov_b32_e32 v5, 0
	s_waitcnt lgkmcnt(0)
	v_cmp_gt_u64_e32 vcc, s[8:9], v[4:5]
	s_and_saveexec_b64 s[2:3], vcc
	s_cbranch_execz .LBB0_15
; %bb.1:
	v_mul_lo_u16_e32 v1, 13, v2
	s_mov_b32 s4, 0xaf286bcb
	v_sub_u16_e32 v5, v0, v1
	v_mul_hi_u32 v0, v4, s4
	v_sub_u32_e32 v1, v4, v0
	v_lshrrev_b32_e32 v1, 1, v1
	v_add_u32_e32 v0, v1, v0
	s_load_dwordx2 s[12:13], s[0:1], 0x0
	s_load_dwordx2 s[2:3], s[0:1], 0x38
	v_lshrrev_b32_e32 v0, 4, v0
	v_mul_lo_u32 v0, v0, 19
	v_sub_u32_e32 v0, v4, v0
	v_mul_u32_u24_e32 v22, 0x41, v0
	v_cmp_gt_u16_e32 vcc, 5, v5
	v_lshlrev_b32_e32 v21, 2, v5
	v_lshlrev_b32_e32 v23, 2, v22
	v_or_b32_e32 v20, 40, v5
	s_and_saveexec_b64 s[8:9], vcc
	s_cbranch_execz .LBB0_3
; %bb.2:
	s_load_dwordx2 s[4:5], s[0:1], 0x18
	v_mov_b32_e32 v0, s10
	v_mov_b32_e32 v1, s11
	v_lshl_add_u32 v30, v5, 2, v23
	v_add_u32_e32 v33, v23, v21
	s_waitcnt lgkmcnt(0)
	s_load_dwordx4 s[4:7], s[4:5], 0x0
	s_waitcnt lgkmcnt(0)
	v_mad_u64_u32 v[2:3], s[10:11], s6, v4, 0
	v_mad_u64_u32 v[6:7], s[10:11], s4, v5, 0
	v_mov_b32_e32 v8, v3
	v_mov_b32_e32 v10, v7
	v_mad_u64_u32 v[8:9], s[6:7], s7, v4, v[8:9]
	v_mov_b32_e32 v3, v8
	v_mad_u64_u32 v[8:9], s[6:7], s5, v5, v[10:11]
	v_mov_b32_e32 v7, v8
	v_lshl_add_u64 v[0:1], v[2:3], 2, v[0:1]
	v_lshl_add_u64 v[2:3], v[6:7], 2, v[0:1]
	global_load_dword v10, v[2:3], off
	global_load_dword v11, v21, s[12:13]
	v_mad_u64_u32 v[2:3], s[6:7], s4, 20, v[2:3]
	s_mul_i32 s10, s5, 20
	v_add_u32_e32 v3, s10, v3
	global_load_dword v12, v[2:3], off
	global_load_dword v13, v21, s[12:13] offset:20
	v_mad_u64_u32 v[2:3], s[6:7], s4, 20, v[2:3]
	v_add_u32_e32 v3, s10, v3
	global_load_dword v14, v[2:3], off
	global_load_dword v15, v21, s[12:13] offset:40
	v_mad_u64_u32 v[2:3], s[6:7], s4, 20, v[2:3]
	;; [unrolled: 4-line block ×4, first 2 shown]
	v_add_u32_e32 v3, s10, v3
	global_load_dword v24, v[2:3], off
	global_load_dword v25, v21, s[12:13] offset:100
	global_load_dword v26, v21, s[12:13] offset:120
	;; [unrolled: 1-line block ×3, first 2 shown]
	v_mad_u64_u32 v[2:3], s[6:7], s4, 20, v[2:3]
	v_add_u32_e32 v3, s10, v3
	global_load_dword v28, v[2:3], off
	v_mad_u64_u32 v[2:3], s[6:7], s4, 20, v[2:3]
	v_mad_u64_u32 v[6:7], s[6:7], s4, v20, 0
	v_add_u32_e32 v3, s10, v3
	v_mov_b32_e32 v8, v7
	global_load_dword v29, v[2:3], off
	v_mad_u64_u32 v[8:9], s[6:7], s5, v20, v[8:9]
	v_mov_b32_e32 v7, v8
	v_lshl_add_u64 v[0:1], v[6:7], 2, v[0:1]
	global_load_dword v6, v[0:1], off
	global_load_dword v7, v21, s[12:13] offset:160
	v_mad_u64_u32 v[0:1], s[6:7], s4, 40, v[2:3]
	v_mov_b32_e32 v2, v1
	v_mad_u64_u32 v[2:3], s[6:7], s5, 40, v[2:3]
	v_mov_b32_e32 v1, v2
	global_load_dword v2, v[0:1], off
	global_load_dword v3, v21, s[12:13] offset:180
	v_mad_u64_u32 v[0:1], s[6:7], s4, 20, v[0:1]
	v_add_u32_e32 v1, s10, v1
	global_load_dword v8, v[0:1], off
	global_load_dword v9, v21, s[12:13] offset:200
	v_mad_u64_u32 v[0:1], s[6:7], s4, 20, v[0:1]
	v_add_u32_e32 v1, s10, v1
	;; [unrolled: 4-line block ×3, first 2 shown]
	global_load_dword v34, v[0:1], off
	global_load_dword v35, v21, s[12:13] offset:240
	s_waitcnt vmcnt(25)
	v_lshrrev_b32_e32 v0, 16, v10
	s_waitcnt vmcnt(24)
	v_mul_f16_sdwa v1, v11, v10 dst_sel:DWORD dst_unused:UNUSED_PAD src0_sel:WORD_1 src1_sel:DWORD
	v_mul_f16_sdwa v36, v11, v0 dst_sel:DWORD dst_unused:UNUSED_PAD src0_sel:WORD_1 src1_sel:DWORD
	v_fma_f16 v0, v11, v0, -v1
	v_fma_f16 v1, v11, v10, v36
	s_waitcnt vmcnt(23)
	v_lshrrev_b32_e32 v10, 16, v12
	s_waitcnt vmcnt(22)
	v_mul_f16_sdwa v11, v13, v12 dst_sel:DWORD dst_unused:UNUSED_PAD src0_sel:WORD_1 src1_sel:DWORD
	v_pack_b32_f16 v0, v1, v0
	v_mul_f16_sdwa v1, v13, v10 dst_sel:DWORD dst_unused:UNUSED_PAD src0_sel:WORD_1 src1_sel:DWORD
	ds_write_b32 v30, v0
	v_fma_f16 v0, v13, v12, v1
	v_fma_f16 v1, v13, v10, -v11
	v_pack_b32_f16 v0, v0, v1
	s_waitcnt vmcnt(21)
	v_lshrrev_b32_e32 v1, 16, v14
	s_waitcnt vmcnt(20)
	v_mul_f16_sdwa v10, v15, v1 dst_sel:DWORD dst_unused:UNUSED_PAD src0_sel:WORD_1 src1_sel:DWORD
	v_mul_f16_sdwa v11, v15, v14 dst_sel:DWORD dst_unused:UNUSED_PAD src0_sel:WORD_1 src1_sel:DWORD
	v_fma_f16 v10, v15, v14, v10
	v_fma_f16 v1, v15, v1, -v11
	v_pack_b32_f16 v1, v10, v1
	ds_write2_b32 v33, v0, v1 offset0:5 offset1:10
	s_waitcnt vmcnt(19)
	v_lshrrev_b32_e32 v0, 16, v16
	s_waitcnt vmcnt(18)
	v_mul_f16_sdwa v1, v17, v0 dst_sel:DWORD dst_unused:UNUSED_PAD src0_sel:WORD_1 src1_sel:DWORD
	v_mul_f16_sdwa v10, v17, v16 dst_sel:DWORD dst_unused:UNUSED_PAD src0_sel:WORD_1 src1_sel:DWORD
	v_fma_f16 v1, v17, v16, v1
	v_fma_f16 v0, v17, v0, -v10
	v_pack_b32_f16 v0, v1, v0
	s_waitcnt vmcnt(17)
	v_lshrrev_b32_e32 v1, 16, v18
	s_waitcnt vmcnt(16)
	v_mul_f16_sdwa v10, v19, v1 dst_sel:DWORD dst_unused:UNUSED_PAD src0_sel:WORD_1 src1_sel:DWORD
	v_mul_f16_sdwa v11, v19, v18 dst_sel:DWORD dst_unused:UNUSED_PAD src0_sel:WORD_1 src1_sel:DWORD
	v_fma_f16 v10, v19, v18, v10
	v_fma_f16 v1, v19, v1, -v11
	v_pack_b32_f16 v1, v10, v1
	ds_write2_b32 v33, v0, v1 offset0:15 offset1:20
	s_waitcnt vmcnt(15)
	v_lshrrev_b32_e32 v0, 16, v24
	s_waitcnt vmcnt(14)
	v_mul_f16_sdwa v1, v25, v0 dst_sel:DWORD dst_unused:UNUSED_PAD src0_sel:WORD_1 src1_sel:DWORD
	v_mul_f16_sdwa v10, v25, v24 dst_sel:DWORD dst_unused:UNUSED_PAD src0_sel:WORD_1 src1_sel:DWORD
	v_fma_f16 v1, v25, v24, v1
	v_fma_f16 v0, v25, v0, -v10
	v_pack_b32_f16 v0, v1, v0
	s_waitcnt vmcnt(11)
	v_lshrrev_b32_e32 v1, 16, v28
	v_mul_f16_sdwa v10, v26, v1 dst_sel:DWORD dst_unused:UNUSED_PAD src0_sel:WORD_1 src1_sel:DWORD
	v_mul_f16_sdwa v11, v26, v28 dst_sel:DWORD dst_unused:UNUSED_PAD src0_sel:WORD_1 src1_sel:DWORD
	v_fma_f16 v10, v26, v28, v10
	v_fma_f16 v1, v26, v1, -v11
	v_pack_b32_f16 v1, v10, v1
	ds_write2_b32 v33, v0, v1 offset0:25 offset1:30
	s_waitcnt vmcnt(10)
	v_lshrrev_b32_e32 v0, 16, v29
	v_mul_f16_sdwa v1, v27, v0 dst_sel:DWORD dst_unused:UNUSED_PAD src0_sel:WORD_1 src1_sel:DWORD
	v_mul_f16_sdwa v10, v27, v29 dst_sel:DWORD dst_unused:UNUSED_PAD src0_sel:WORD_1 src1_sel:DWORD
	v_fma_f16 v1, v27, v29, v1
	v_fma_f16 v0, v27, v0, -v10
	v_pack_b32_f16 v0, v1, v0
	s_waitcnt vmcnt(9)
	v_lshrrev_b32_e32 v1, 16, v6
	s_waitcnt vmcnt(8)
	v_mul_f16_sdwa v10, v7, v1 dst_sel:DWORD dst_unused:UNUSED_PAD src0_sel:WORD_1 src1_sel:DWORD
	v_fma_f16 v10, v7, v6, v10
	v_mul_f16_sdwa v6, v7, v6 dst_sel:DWORD dst_unused:UNUSED_PAD src0_sel:WORD_1 src1_sel:DWORD
	v_fma_f16 v1, v7, v1, -v6
	v_pack_b32_f16 v1, v10, v1
	ds_write2_b32 v33, v0, v1 offset0:35 offset1:40
	s_waitcnt vmcnt(7)
	v_lshrrev_b32_e32 v0, 16, v2
	s_waitcnt vmcnt(6)
	v_mul_f16_sdwa v1, v3, v0 dst_sel:DWORD dst_unused:UNUSED_PAD src0_sel:WORD_1 src1_sel:DWORD
	v_fma_f16 v1, v3, v2, v1
	v_mul_f16_sdwa v2, v3, v2 dst_sel:DWORD dst_unused:UNUSED_PAD src0_sel:WORD_1 src1_sel:DWORD
	v_fma_f16 v0, v3, v0, -v2
	v_pack_b32_f16 v0, v1, v0
	s_waitcnt vmcnt(5)
	v_lshrrev_b32_e32 v1, 16, v8
	s_waitcnt vmcnt(4)
	v_mul_f16_sdwa v2, v9, v1 dst_sel:DWORD dst_unused:UNUSED_PAD src0_sel:WORD_1 src1_sel:DWORD
	v_mul_f16_sdwa v3, v9, v8 dst_sel:DWORD dst_unused:UNUSED_PAD src0_sel:WORD_1 src1_sel:DWORD
	v_fma_f16 v2, v9, v8, v2
	v_fma_f16 v1, v9, v1, -v3
	v_pack_b32_f16 v1, v2, v1
	ds_write2_b32 v33, v0, v1 offset0:45 offset1:50
	s_waitcnt vmcnt(3)
	v_lshrrev_b32_e32 v0, 16, v31
	s_waitcnt vmcnt(2)
	v_mul_f16_sdwa v1, v32, v0 dst_sel:DWORD dst_unused:UNUSED_PAD src0_sel:WORD_1 src1_sel:DWORD
	v_mul_f16_sdwa v2, v32, v31 dst_sel:DWORD dst_unused:UNUSED_PAD src0_sel:WORD_1 src1_sel:DWORD
	v_fma_f16 v1, v32, v31, v1
	v_fma_f16 v0, v32, v0, -v2
	v_pack_b32_f16 v0, v1, v0
	s_waitcnt vmcnt(1)
	v_lshrrev_b32_e32 v1, 16, v34
	s_waitcnt vmcnt(0)
	v_mul_f16_sdwa v2, v35, v1 dst_sel:DWORD dst_unused:UNUSED_PAD src0_sel:WORD_1 src1_sel:DWORD
	v_mul_f16_sdwa v3, v35, v34 dst_sel:DWORD dst_unused:UNUSED_PAD src0_sel:WORD_1 src1_sel:DWORD
	v_fma_f16 v2, v35, v34, v2
	v_fma_f16 v1, v35, v1, -v3
	v_pack_b32_f16 v1, v2, v1
	ds_write2_b32 v33, v0, v1 offset0:55 offset1:60
.LBB0_3:
	s_or_b64 exec, exec, s[8:9]
	s_load_dwordx2 s[6:7], s[0:1], 0x20
	s_load_dwordx2 s[4:5], s[0:1], 0x8
	v_mov_b32_e32 v0, 0
	s_waitcnt lgkmcnt(0)
	s_barrier
	s_waitcnt lgkmcnt(0)
                                        ; implicit-def: $vgpr37
                                        ; implicit-def: $vgpr19
                                        ; implicit-def: $vgpr40
                                        ; implicit-def: $vgpr42
                                        ; implicit-def: $vgpr17
                                        ; implicit-def: $vgpr43
                                        ; implicit-def: $vgpr39
                                        ; implicit-def: $vgpr15
                                        ; implicit-def: $vgpr45
                                        ; implicit-def: $vgpr44
                                        ; implicit-def: $vgpr36
                                        ; implicit-def: $vgpr13
                                        ; implicit-def: $vgpr10
                                        ; implicit-def: $vgpr34
                                        ; implicit-def: $vgpr3
                                        ; implicit-def: $vgpr35
                                        ; implicit-def: $vgpr38
                                        ; implicit-def: $vgpr41
	s_and_saveexec_b64 s[0:1], vcc
	s_cbranch_execz .LBB0_5
; %bb.4:
	v_lshl_add_u32 v6, v22, 2, v21
	ds_read2_b32 v[0:1], v6 offset1:5
	ds_read2_b32 v[2:3], v6 offset0:10 offset1:15
	ds_read2_b32 v[12:13], v6 offset0:20 offset1:25
	ds_read2_b32 v[14:15], v6 offset0:30 offset1:35
	ds_read2_b32 v[16:17], v6 offset0:40 offset1:45
	ds_read2_b32 v[18:19], v6 offset0:50 offset1:55
	ds_read_b32 v45, v6 offset:240
	s_waitcnt lgkmcnt(6)
	v_lshrrev_b32_e32 v41, 16, v1
	s_waitcnt lgkmcnt(5)
	v_lshrrev_b32_e32 v38, 16, v2
	v_lshrrev_b32_e32 v35, 16, v3
	s_waitcnt lgkmcnt(4)
	v_lshrrev_b32_e32 v34, 16, v12
	;; [unrolled: 3-line block ×6, first 2 shown]
.LBB0_5:
	s_or_b64 exec, exec, s[0:1]
	v_sub_f16_e32 v11, v41, v44
	v_add_f16_e32 v54, v45, v1
	s_movk_i32 s8, 0x388b
	v_mul_f16_e32 v46, 0xba95, v11
	s_movk_i32 s0, 0x2fb7
	v_mul_f16_e32 v47, 0xbbf1, v11
	v_sub_f16_e32 v25, v38, v37
	v_fma_f16 v6, v54, s8, v46
	v_fma_f16 v7, v54, s0, v47
	s_mov_b32 s1, 0xb5ac
	s_mov_b32 s11, 0xbbc4
	v_add_f16_e32 v58, v19, v2
	v_mul_f16_e32 v48, 0xbb7b, v25
	v_mul_f16_e32 v50, 0xb3a8, v25
	v_sub_f16_e32 v29, v35, v40
	v_fma_f16 v26, v58, s1, v48
	v_fma_f16 v27, v58, s11, v50
	v_add_f16_e32 v59, v18, v3
	v_mul_f16_e32 v49, 0xb3a8, v29
	v_mul_f16_e32 v52, 0x3b7b, v29
	v_sub_f16_e32 v32, v34, v42
	v_add_f16_e32 v6, v6, v0
	v_add_f16_e32 v7, v7, v0
	s_movk_i32 s9, 0x3b15
	s_mov_b32 s10, 0xb9fd
	v_fma_f16 v30, v59, s11, v49
	v_fma_f16 v31, v59, s1, v52
	v_add_f16_e32 v60, v17, v12
	v_mul_f16_e32 v51, 0x394e, v32
	v_mul_f16_e32 v57, 0x3770, v32
	v_sub_f16_e32 v97, v10, v43
	v_add_f16_e32 v6, v26, v6
	v_add_f16_e32 v7, v27, v7
	v_mul_f16_e32 v53, 0xbb7b, v11
	v_fma_f16 v33, v60, s10, v51
	v_fma_f16 v65, v60, s9, v57
	v_add_f16_e32 v61, v16, v13
	v_mul_f16_e32 v55, 0x3bf1, v97
	v_mul_f16_e32 v62, 0xba95, v97
	v_add_f16_e32 v6, v30, v6
	v_add_f16_e32 v7, v31, v7
	v_sub_f16_e32 v27, v36, v39
	v_fma_f16 v8, v54, s1, v53
	v_mul_f16_e32 v56, 0x394e, v25
	v_fma_f16 v66, v61, s0, v55
	v_fma_f16 v26, v61, s8, v62
	v_add_f16_e32 v64, v15, v14
	v_add_f16_e32 v6, v33, v6
	v_mul_f16_e32 v63, 0x3770, v27
	v_add_f16_e32 v7, v65, v7
	v_mul_f16_e32 v65, 0xb94e, v27
	v_mul_f16_e32 v24, 0xb94e, v11
	v_fma_f16 v28, v58, s10, v56
	v_fma_f16 v30, v64, s9, v63
	v_add_f16_e32 v6, v66, v6
	v_add_f16_e32 v26, v26, v7
	v_fma_f16 v31, v64, s10, v65
	v_add_f16_e32 v8, v8, v0
	v_mul_f16_e32 v68, 0x3770, v29
	v_fma_f16 v9, v54, s10, v24
	v_add_f16_e32 v7, v30, v6
	v_add_f16_e32 v6, v31, v26
	v_mul_f16_e32 v26, 0x3bf1, v25
	v_add_f16_e32 v8, v28, v8
	v_fma_f16 v28, v59, s9, v68
	v_fma_f16 v30, v58, s0, v26
	v_add_f16_e32 v9, v9, v0
	v_add_f16_e32 v8, v28, v8
	v_mul_f16_e32 v28, 0xba95, v29
	v_add_f16_e32 v9, v30, v9
	v_fma_f16 v30, v59, s8, v28
	v_mul_f16_e32 v69, 0xbbf1, v32
	v_add_f16_e32 v9, v30, v9
	v_fma_f16 v30, v60, s0, v69
	v_add_f16_e32 v8, v30, v8
	v_mul_f16_e32 v30, 0x33a8, v32
	v_fma_f16 v31, v60, s11, v30
	v_mul_f16_e32 v70, 0x33a8, v97
	v_add_f16_e32 v9, v31, v9
	v_fma_f16 v31, v61, s11, v70
	v_add_f16_e32 v8, v31, v8
	v_mul_f16_e32 v31, 0x3770, v97
	v_fma_f16 v33, v61, s9, v31
	v_mul_f16_e32 v71, 0x3a95, v27
	v_add_f16_e32 v33, v33, v9
	v_fma_f16 v9, v64, s8, v71
	v_mul_f16_e32 v118, 0xbb7b, v27
	v_add_f16_e32 v9, v9, v8
	v_fma_f16 v8, v64, s1, v118
	v_add_f16_e32 v8, v8, v33
	v_sub_f16_e32 v33, v1, v45
	v_add_f16_e32 v88, v44, v41
	v_mul_f16_e32 v66, 0xba95, v33
	v_fma_f16 v67, v88, s8, -v66
	v_sub_f16_e32 v82, v2, v19
	v_add_f16_sdwa v72, v67, v0 dst_sel:DWORD dst_unused:UNUSED_PAD src0_sel:DWORD src1_sel:WORD_1
	v_add_f16_e32 v77, v37, v38
	v_mul_f16_e32 v67, 0xbb7b, v82
	v_fma_f16 v73, v77, s1, -v67
	v_add_f16_e32 v75, v73, v72
	v_mul_f16_e32 v72, 0xbbf1, v33
	v_fma_f16 v73, v88, s0, -v72
	v_add_f16_sdwa v74, v73, v0 dst_sel:DWORD dst_unused:UNUSED_PAD src0_sel:DWORD src1_sel:WORD_1
	v_mul_f16_e32 v73, 0xb3a8, v82
	v_fma_f16 v76, v77, s11, -v73
	v_mul_f16_e32 v103, 0xbb7b, v33
	v_fma_f16 v24, v54, s10, -v24
	v_add_f16_e32 v78, v76, v74
	v_fma_f16 v74, v88, s1, -v103
	v_mul_f16_e32 v101, 0x394e, v82
	v_fma_f16 v26, v58, s0, -v26
	v_add_f16_e32 v24, v24, v0
	v_add_f16_sdwa v74, v74, v0 dst_sel:DWORD dst_unused:UNUSED_PAD src0_sel:DWORD src1_sel:WORD_1
	v_fma_f16 v76, v77, s10, -v101
	v_add_f16_e32 v24, v26, v24
	v_mul_f16_e32 v26, 0xb94e, v33
	v_add_f16_e32 v79, v76, v74
	v_fma_f16 v74, v88, s10, v26
	v_mul_f16_e32 v76, 0x3bf1, v82
	v_add_f16_sdwa v74, v74, v0 dst_sel:DWORD dst_unused:UNUSED_PAD src0_sel:DWORD src1_sel:WORD_1
	v_fma_f16 v80, v77, s0, v76
	v_fma_f16 v26, v88, s10, -v26
	v_add_f16_e32 v80, v80, v74
	v_fma_f16 v74, v77, s0, -v76
	v_add_f16_sdwa v26, v26, v0 dst_sel:DWORD dst_unused:UNUSED_PAD src0_sel:DWORD src1_sel:WORD_1
	v_add_f16_e32 v26, v74, v26
	v_mul_f16_e32 v74, 0xb3a8, v33
	v_fma_f16 v76, v88, s11, v74
	v_mul_f16_e32 v81, 0x3770, v82
	v_add_f16_sdwa v76, v76, v0 dst_sel:DWORD dst_unused:UNUSED_PAD src0_sel:DWORD src1_sel:WORD_1
	v_fma_f16 v83, v77, s9, v81
	v_fma_f16 v74, v88, s11, -v74
	v_add_f16_e32 v83, v83, v76
	v_fma_f16 v76, v77, s9, -v81
	v_add_f16_sdwa v74, v74, v0 dst_sel:DWORD dst_unused:UNUSED_PAD src0_sel:DWORD src1_sel:WORD_1
	v_sub_f16_e32 v87, v3, v18
	v_add_f16_e32 v81, v76, v74
	v_add_f16_e32 v92, v40, v35
	v_mul_f16_e32 v74, 0xb3a8, v87
	v_fma_f16 v76, v92, s11, -v74
	v_add_f16_e32 v84, v76, v75
	v_mul_f16_e32 v76, 0x3b7b, v87
	v_fma_f16 v75, v92, s1, -v76
	v_mul_f16_e32 v111, 0x3770, v87
	v_fma_f16 v28, v59, s8, -v28
	v_add_f16_e32 v78, v75, v78
	v_fma_f16 v75, v92, s9, -v111
	v_add_f16_e32 v24, v28, v24
	v_mul_f16_e32 v28, 0xba95, v87
	v_add_f16_e32 v79, v75, v79
	v_fma_f16 v75, v92, s8, v28
	v_fma_f16 v28, v92, s8, -v28
	v_add_f16_e32 v26, v28, v26
	v_mul_f16_e32 v28, 0xb94e, v87
	v_add_f16_e32 v80, v75, v80
	v_fma_f16 v75, v92, s10, v28
	v_sub_f16_e32 v91, v12, v17
	v_add_f16_e32 v85, v75, v83
	v_fma_f16 v28, v92, s10, -v28
	v_add_f16_e32 v98, v42, v34
	v_mul_f16_e32 v75, 0x394e, v91
	v_add_f16_e32 v28, v28, v81
	v_fma_f16 v81, v98, s10, -v75
	v_mul_f16_e32 v83, 0x3770, v91
	v_add_f16_e32 v81, v81, v84
	v_fma_f16 v84, v98, s9, -v83
	v_mul_f16_e32 v112, 0xbbf1, v91
	v_fma_f16 v30, v60, s11, -v30
	v_add_f16_e32 v78, v84, v78
	v_fma_f16 v84, v98, s0, -v112
	v_add_f16_e32 v24, v30, v24
	v_mul_f16_e32 v30, 0x33a8, v91
	v_add_f16_e32 v79, v84, v79
	v_fma_f16 v84, v98, s11, v30
	v_fma_f16 v30, v98, s11, -v30
	v_add_f16_e32 v26, v30, v26
	v_mul_f16_e32 v30, 0x3a95, v91
	v_add_f16_e32 v84, v84, v80
	v_fma_f16 v80, v98, s8, v30
	v_fma_f16 v30, v98, s8, -v30
	v_add_f16_e32 v28, v30, v28
	v_sub_f16_e32 v30, v13, v16
	v_add_f16_e32 v85, v80, v85
	v_add_f16_e32 v108, v43, v10
	v_mul_f16_e32 v80, 0x3bf1, v30
	v_fma_f16 v86, v108, s0, -v80
	v_mul_f16_e32 v96, 0xba95, v30
	v_add_f16_e32 v115, v86, v81
	v_fma_f16 v81, v108, s8, -v96
	v_mul_f16_e32 v114, 0x33a8, v30
	v_fma_f16 v31, v61, s9, -v31
	v_add_f16_e32 v117, v81, v78
	v_fma_f16 v78, v108, s11, -v114
	v_add_f16_e32 v24, v31, v24
	v_mul_f16_e32 v31, 0x3770, v30
	v_add_f16_e32 v119, v78, v79
	v_fma_f16 v78, v108, s9, v31
	v_fma_f16 v31, v108, s9, -v31
	v_add_f16_e32 v31, v31, v26
	v_mul_f16_e32 v26, 0xbb7b, v30
	v_add_f16_e32 v120, v78, v84
	v_fma_f16 v78, v108, s1, v26
	s_mov_b32 s11, 0x3b15bbc4
	s_mov_b32 s14, 0xb770b3a8
	v_add_f16_e32 v121, v78, v85
	v_fma_f16 v26, v108, s1, -v26
	v_mul_f16_e32 v81, 0xb770, v33
	v_pk_mul_f16 v78, v11, s14 op_sel_hi:[0,1]
	v_mul_f16_e32 v85, 0x3b15, v88
	v_pk_mul_f16 v79, v54, s11 op_sel_hi:[0,1]
	s_mov_b32 s14, 0x388b3b15
	s_mov_b32 s15, 0xba953770
	v_add_f16_e32 v122, v26, v28
	v_pack_b32_f16 v11, v85, v79
	v_pack_b32_f16 v26, v81, v78
	v_mul_f16_e32 v86, 0xba95, v82
	v_pk_mul_f16 v82, v25, s15 op_sel_hi:[0,1]
	v_mul_f16_e32 v90, 0x388b, v77
	v_pk_mul_f16 v84, v58, s14 op_sel_hi:[0,1]
	v_pk_add_f16 v11, v11, v26 neg_lo:[0,1] neg_hi:[0,1]
	v_pack_b32_f16 v25, v90, v84
	v_pack_b32_f16 v26, v86, v82
	s_mov_b32 s15, 0x2fb7b9fd
	s_mov_b32 s16, 0xbbf1b94e
	v_pk_add_f16 v25, v25, v26 neg_lo:[0,1] neg_hi:[0,1]
	v_pk_add_f16 v11, v11, v0 op_sel:[0,1] op_sel_hi:[1,0]
	v_mul_f16_e32 v93, 0xbbf1, v87
	v_pk_mul_f16 v87, v29, s16 op_sel_hi:[0,1]
	v_mul_f16_e32 v95, 0x2fb7, v92
	v_pk_mul_f16 v89, v59, s15 op_sel_hi:[0,1]
	v_pk_add_f16 v11, v25, v11
	v_pack_b32_f16 v25, v95, v89
	v_pack_b32_f16 v26, v93, v87
	s_mov_b32 s16, 0xb5ac388b
	s_mov_b32 s17, 0xbb7b3a95
	v_pk_add_f16 v25, v25, v26 neg_lo:[0,1] neg_hi:[0,1]
	v_mul_f16_e32 v99, 0xbb7b, v91
	v_pk_mul_f16 v91, v32, s17 op_sel_hi:[0,1]
	v_mul_f16_e32 v102, 0xb5ac, v98
	v_pk_mul_f16 v94, v60, s16 op_sel_hi:[0,1]
	v_pk_add_f16 v11, v25, v11
	v_pack_b32_f16 v25, v102, v94
	v_pack_b32_f16 v26, v99, v91
	s_mov_b32 s17, 0xb9fdb5ac
	s_mov_b32 s18, 0xb94ebb7b
	v_pk_add_f16 v25, v25, v26 neg_lo:[0,1] neg_hi:[0,1]
	v_mul_f16_e32 v105, 0xb94e, v30
	v_pk_mul_f16 v97, v97, s18 op_sel_hi:[0,1]
	v_mul_f16_e32 v107, 0xb9fd, v108
	v_pk_mul_f16 v100, v61, s17 op_sel_hi:[0,1]
	s_mov_b32 s19, 0xb3a83bf1
	v_pk_add_f16 v11, v25, v11
	v_pack_b32_f16 v25, v107, v100
	v_pack_b32_f16 v26, v105, v97
	s_mov_b32 s18, 0xbbc42fb7
	v_pk_mul_f16 v104, v27, s19 op_sel_hi:[0,1]
	v_add_f16_e32 v116, v39, v36
	v_sub_f16_e32 v27, v14, v15
	v_pk_add_f16 v25, v25, v26 neg_lo:[0,1] neg_hi:[0,1]
	v_mul_f16_e32 v109, 0xbbc4, v116
	v_mul_f16_e32 v110, 0xb3a8, v27
	v_pk_mul_f16 v106, v64, s18 op_sel_hi:[0,1]
	v_pk_add_f16 v11, v25, v11
	v_pack_b32_f16 v25, v109, v106
	v_pack_b32_f16 v26, v110, v104
	v_mul_f16_e32 v113, 0x3770, v27
	v_pk_add_f16 v32, v25, v26 neg_lo:[0,1] neg_hi:[0,1]
	v_fma_f16 v25, v116, s9, -v113
	v_add_f16_e32 v26, v25, v115
	v_mul_f16_e32 v115, 0xb94e, v27
	v_fma_f16 v25, v116, s10, -v115
	v_add_f16_e32 v28, v25, v117
	v_mul_f16_e32 v117, 0x3a95, v27
	v_fma_f16 v25, v116, s8, -v117
	v_pk_fma_f16 v33, v54, s11, v78 op_sel_hi:[0,1,1]
	v_add_f16_e32 v30, v25, v119
	v_pk_add_f16 v33, v33, v0 op_sel_hi:[1,0]
	v_pk_fma_f16 v119, v58, s14, v82 op_sel_hi:[0,1,1]
	v_pk_add_f16 v33, v119, v33
	v_pk_fma_f16 v119, v59, s15, v87 op_sel_hi:[0,1,1]
	v_mul_f16_e32 v29, 0xbb7b, v27
	v_pk_add_f16 v33, v119, v33
	v_pk_fma_f16 v119, v60, s16, v91 op_sel_hi:[0,1,1]
	v_fma_f16 v25, v116, s1, v29
	v_fma_f16 v29, v116, s1, -v29
	v_pk_add_f16 v33, v119, v33
	v_pk_fma_f16 v119, v61, s17, v97 op_sel_hi:[0,1,1]
	v_add_f16_e32 v29, v29, v31
	v_mul_f16_e32 v31, 0x3bf1, v27
	v_pk_add_f16 v33, v119, v33
	v_pk_add_f16 v32, v32, v11
	v_pk_fma_f16 v11, v64, s18, v104 op_sel_hi:[0,1,1]
	v_pk_add_f16 v33, v11, v33
	v_fma_f16 v11, v116, s0, -v31
	v_fma_f16 v27, v116, s0, v31
	v_add_f16_e32 v31, v11, v122
	v_fma_f16 v11, v64, s1, -v118
	v_add_f16_e32 v25, v25, v120
	v_add_f16_e32 v27, v27, v121
	;; [unrolled: 1-line block ×3, first 2 shown]
	v_mul_lo_u16_e32 v24, 13, v5
	s_barrier
	s_and_saveexec_b64 s[0:1], vcc
	s_cbranch_execz .LBB0_7
; %bb.6:
	v_mul_f16_e32 v120, 0xb5ac, v88
	v_add_f16_e32 v103, v103, v120
	v_mul_f16_e32 v120, 0xb9fd, v77
	v_add_f16_e32 v101, v101, v120
	v_add_f16_sdwa v103, v103, v0 dst_sel:DWORD dst_unused:UNUSED_PAD src0_sel:DWORD src1_sel:WORD_1
	v_add_f16_e32 v101, v101, v103
	v_mul_f16_e32 v103, 0x3b15, v92
	v_add_f16_e32 v103, v111, v103
	v_add_f16_e32 v101, v103, v101
	v_mul_f16_e32 v103, 0x2fb7, v98
	v_add_f16_e32 v103, v112, v103
	v_add_f16_e32 v101, v103, v101
	v_mul_f16_e32 v103, 0xbbc4, v108
	v_mul_f16_e32 v118, 0x388b, v54
	;; [unrolled: 1-line block ×4, first 2 shown]
	v_add_f16_e32 v103, v114, v103
	v_mul_f16_e32 v111, 0xb5ac, v58
	v_mul_f16_e32 v114, 0xbbc4, v58
	;; [unrolled: 1-line block ×3, first 2 shown]
	v_add_f16_e32 v101, v103, v101
	v_mul_f16_e32 v103, 0x388b, v116
	v_sub_f16_e32 v53, v54, v53
	v_add_f16_e32 v103, v117, v103
	v_mul_f16_e32 v117, 0xbbc4, v59
	v_mul_f16_e32 v54, 0xb5ac, v59
	;; [unrolled: 1-line block ×3, first 2 shown]
	v_sub_f16_e32 v56, v58, v56
	v_add_f16_e32 v53, v53, v0
	v_mul_f16_e32 v58, 0xb9fd, v60
	v_add_f16_e32 v53, v56, v53
	v_sub_f16_e32 v59, v59, v68
	v_mul_f16_e32 v68, 0x3b15, v60
	v_mul_f16_e32 v60, 0x2fb7, v60
	v_sub_f16_e32 v47, v120, v47
	v_sub_f16_e32 v46, v118, v46
	v_add_f16_e32 v53, v59, v53
	v_sub_f16_e32 v60, v60, v69
	v_add_f16_e32 v47, v47, v0
	;; [unrolled: 2-line block ×3, first 2 shown]
	v_sub_f16_e32 v48, v111, v48
	v_mul_f16_e32 v59, 0x2fb7, v61
	v_add_f16_e32 v53, v60, v53
	v_mul_f16_e32 v60, 0x388b, v61
	v_mul_f16_e32 v61, 0xbbc4, v61
	v_add_f16_e32 v47, v50, v47
	v_sub_f16_e32 v50, v54, v52
	v_add_f16_e32 v46, v48, v46
	v_sub_f16_e32 v48, v117, v49
	v_sub_f16_e32 v61, v61, v70
	v_add_f16_e32 v47, v50, v47
	v_sub_f16_e32 v50, v68, v57
	v_add_f16_e32 v46, v48, v46
	v_sub_f16_e32 v48, v58, v51
	v_mul_f16_e32 v70, 0x3b15, v64
	v_add_f16_e32 v53, v61, v53
	v_mul_f16_e32 v61, 0x388b, v64
	v_mul_f16_e32 v64, 0xb9fd, v64
	v_add_f16_e32 v47, v50, v47
	v_sub_f16_e32 v50, v60, v62
	v_add_f16_e32 v46, v48, v46
	v_sub_f16_e32 v48, v59, v55
	v_mul_f16_e32 v119, 0x388b, v88
	v_mul_f16_e32 v88, 0x2fb7, v88
	v_add_f16_e32 v47, v50, v47
	v_sub_f16_e32 v50, v64, v65
	v_add_f16_e32 v46, v48, v46
	v_sub_f16_e32 v48, v70, v63
	v_sub_f16_e32 v61, v61, v71
	v_add_f16_e32 v72, v72, v88
	v_add_f16_e32 v47, v50, v47
	v_add_f16_e32 v50, v66, v119
	v_add_f16_e32 v46, v48, v46
	v_add_f16_e32 v48, v81, v85
	v_add_f16_e32 v53, v61, v53
	v_alignbit_b32 v61, v0, v0, 16
	v_add_f16_sdwa v72, v72, v0 dst_sel:DWORD dst_unused:UNUSED_PAD src0_sel:DWORD src1_sel:WORD_1
	v_add_f16_sdwa v50, v50, v0 dst_sel:DWORD dst_unused:UNUSED_PAD src0_sel:DWORD src1_sel:WORD_1
	;; [unrolled: 1-line block ×3, first 2 shown]
	v_add_f16_e32 v1, v1, v0
	v_add_f16_sdwa v0, v41, v0 dst_sel:DWORD dst_unused:UNUSED_PAD src0_sel:DWORD src1_sel:WORD_1
	v_add_f16_e32 v49, v86, v90
	v_add_f16_e32 v1, v2, v1
	;; [unrolled: 1-line block ×17, first 2 shown]
	v_sub_f16_sdwa v51, v79, v78 dst_sel:DWORD dst_unused:UNUSED_PAD src0_sel:WORD_1 src1_sel:WORD_1
	v_add_f16_e32 v1, v14, v1
	v_add_f16_e32 v0, v36, v0
	v_mul_f16_e32 v112, 0xb5ac, v77
	v_mul_f16_e32 v77, 0xbbc4, v77
	v_add_f16_e32 v48, v49, v48
	v_sub_f16_sdwa v49, v84, v82 dst_sel:DWORD dst_unused:UNUSED_PAD src0_sel:WORD_1 src1_sel:WORD_1
	v_add_f16_sdwa v51, v51, v61 dst_sel:DWORD dst_unused:UNUSED_PAD src0_sel:DWORD src1_sel:WORD_1
	v_add_f16_e32 v1, v15, v1
	v_add_f16_e32 v0, v39, v0
	;; [unrolled: 1-line block ×3, first 2 shown]
	v_mul_f16_e32 v103, 0xbbc4, v92
	v_mul_f16_e32 v92, 0xb5ac, v92
	v_add_f16_e32 v73, v73, v77
	v_add_f16_e32 v52, v67, v112
	v_add_f16_e32 v49, v49, v51
	v_sub_f16_sdwa v51, v89, v87 dst_sel:DWORD dst_unused:UNUSED_PAD src0_sel:WORD_1 src1_sel:WORD_1
	v_add_f16_e32 v1, v16, v1
	v_add_f16_e32 v0, v43, v0
	v_mul_f16_e32 v56, 0xb9fd, v98
	v_mul_f16_e32 v98, 0x3b15, v98
	v_add_f16_e32 v72, v73, v72
	v_add_f16_e32 v73, v76, v92
	v_add_f16_e32 v50, v52, v50
	v_add_f16_e32 v52, v74, v103
	v_add_f16_e32 v49, v51, v49
	v_sub_f16_sdwa v51, v94, v91 dst_sel:DWORD dst_unused:UNUSED_PAD src0_sel:WORD_1 src1_sel:WORD_1
	v_add_f16_e32 v1, v17, v1
	v_add_f16_e32 v0, v42, v0
	v_mul_f16_e32 v69, 0x2fb7, v108
	v_mul_f16_e32 v108, 0x388b, v108
	v_add_f16_e32 v72, v73, v72
	v_add_f16_e32 v73, v83, v98
	;; [unrolled: 10-line block ×3, first 2 shown]
	v_add_f16_e32 v50, v52, v50
	v_add_f16_e32 v52, v80, v69
	;; [unrolled: 1-line block ×3, first 2 shown]
	v_sub_f16_sdwa v51, v106, v104 dst_sel:DWORD dst_unused:UNUSED_PAD src0_sel:WORD_1 src1_sel:WORD_1
	v_add_f16_e32 v1, v19, v1
	v_add_f16_e32 v0, v37, v0
	;; [unrolled: 1-line block ×11, first 2 shown]
	v_add_lshl_u32 v2, v22, v24, 2
	v_pack_b32_f16 v3, v49, v48
	v_pack_b32_f16 v0, v1, v0
	ds_write2_b32 v2, v0, v3 offset1:1
	v_pack_b32_f16 v0, v47, v72
	v_pack_b32_f16 v1, v46, v50
	s_mov_b32 s8, 0x5040100
	ds_write2_b32 v2, v1, v0 offset0:2 offset1:3
	v_pack_b32_f16 v0, v53, v101
	v_perm_b32 v1, v25, v11, s8
	ds_write2_b32 v2, v0, v1 offset0:4 offset1:5
	v_perm_b32 v0, v31, v33, s8
	v_alignbit_b32 v1, v27, v32, 16
	ds_write2_b32 v2, v1, v0 offset0:6 offset1:7
	v_perm_b32 v0, v30, v9, s8
	v_perm_b32 v1, v29, v8, s8
	ds_write2_b32 v2, v1, v0 offset0:8 offset1:9
	v_perm_b32 v0, v26, v7, s8
	v_perm_b32 v1, v28, v6, s8
	ds_write2_b32 v2, v1, v0 offset0:10 offset1:11
	v_alignbit_b32 v0, v32, v33, 16
	ds_write_b32 v2, v0 offset:48
.LBB0_7:
	s_or_b64 exec, exec, s[0:1]
	v_lshlrev_b32_e32 v0, 4, v5
	s_load_dwordx4 s[8:11], s[6:7], 0x0
	s_waitcnt lgkmcnt(0)
	s_barrier
	global_load_dwordx4 v[0:3], v0, s[4:5]
	v_add_lshl_u32 v16, v22, v5, 2
	ds_read2_b32 v[12:13], v16 offset1:13
	ds_read2_b32 v[14:15], v16 offset0:26 offset1:39
	ds_read_b32 v10, v16 offset:208
	s_movk_i32 s0, 0x3b9c
	s_mov_b32 s5, 0xbb9c
	s_waitcnt lgkmcnt(2)
	v_lshrrev_b32_e32 v18, 16, v13
	s_waitcnt lgkmcnt(1)
	v_lshrrev_b32_e32 v19, 16, v14
	v_lshrrev_b32_e32 v34, 16, v15
	s_waitcnt lgkmcnt(0)
	v_lshrrev_b32_e32 v35, 16, v10
	v_lshrrev_b32_e32 v17, 16, v12
	s_movk_i32 s1, 0x38b4
	s_mov_b32 s6, 0xb8b4
	s_movk_i32 s4, 0x34f2
	s_waitcnt vmcnt(0)
	v_mul_f16_sdwa v36, v18, v0 dst_sel:DWORD dst_unused:UNUSED_PAD src0_sel:DWORD src1_sel:WORD_1
	v_mul_f16_sdwa v37, v13, v0 dst_sel:DWORD dst_unused:UNUSED_PAD src0_sel:DWORD src1_sel:WORD_1
	;; [unrolled: 1-line block ×8, first 2 shown]
	v_fma_f16 v13, v13, v0, -v36
	v_fma_f16 v18, v18, v0, v37
	v_fma_f16 v14, v14, v1, -v38
	v_fma_f16 v19, v19, v1, v39
	;; [unrolled: 2-line block ×4, first 2 shown]
	v_add_f16_e32 v36, v12, v13
	v_add_f16_e32 v37, v14, v15
	v_sub_f16_e32 v40, v13, v14
	v_sub_f16_e32 v41, v10, v15
	v_add_f16_e32 v42, v13, v10
	v_add_f16_e32 v45, v17, v18
	;; [unrolled: 1-line block ×3, first 2 shown]
	v_sub_f16_e32 v38, v18, v35
	v_sub_f16_e32 v39, v19, v34
	v_sub_f16_e32 v43, v14, v13
	v_sub_f16_e32 v44, v15, v10
	v_sub_f16_e32 v47, v13, v10
	v_sub_f16_e32 v48, v14, v15
	v_sub_f16_e32 v13, v18, v19
	v_sub_f16_e32 v49, v35, v34
	v_add_f16_e32 v50, v18, v35
	v_sub_f16_e32 v18, v19, v18
	v_sub_f16_e32 v51, v34, v35
	v_add_f16_e32 v14, v36, v14
	v_fma_f16 v36, v37, -0.5, v12
	v_add_f16_e32 v37, v40, v41
	v_fma_f16 v12, v42, -0.5, v12
	v_add_f16_e32 v19, v45, v19
	v_fma_f16 v41, v46, -0.5, v17
	v_add_f16_e32 v40, v43, v44
	v_add_f16_e32 v42, v13, v49
	v_fma_f16 v17, v50, -0.5, v17
	v_add_f16_e32 v43, v18, v51
	v_add_f16_e32 v13, v14, v15
	v_fma_f16 v14, v38, s0, v36
	v_fma_f16 v15, v38, s5, v36
	v_fma_f16 v18, v39, s5, v12
	v_add_f16_e32 v19, v19, v34
	v_fma_f16 v34, v47, s5, v41
	v_fma_f16 v36, v39, s0, v12
	v_fma_f16 v41, v47, s0, v41
	v_fma_f16 v44, v48, s0, v17
	v_add_f16_e32 v12, v13, v10
	v_fma_f16 v10, v39, s1, v14
	v_fma_f16 v14, v39, s6, v15
	;; [unrolled: 1-line block ×3, first 2 shown]
	v_add_f16_e32 v18, v19, v35
	v_fma_f16 v19, v48, s6, v34
	v_fma_f16 v17, v48, s5, v17
	;; [unrolled: 1-line block ×14, first 2 shown]
	v_lshl_add_u32 v17, v5, 2, v23
	v_pack_b32_f16 v37, v12, v18
	v_pack_b32_f16 v38, v13, v19
	ds_write2_b32 v17, v37, v38 offset1:13
	v_pack_b32_f16 v37, v14, v34
	v_pack_b32_f16 v38, v15, v36
	ds_write2_b32 v17, v37, v38 offset0:26 offset1:39
	v_pack_b32_f16 v37, v10, v35
	ds_write_b32 v17, v37 offset:208
	s_waitcnt lgkmcnt(0)
	s_barrier
	s_and_saveexec_b64 s[0:1], vcc
	s_cbranch_execz .LBB0_9
; %bb.8:
	global_load_dword v37, v21, s[12:13] offset:260
	s_add_u32 s4, s12, 0x104
	s_addc_u32 s5, s13, 0
	global_load_dword v50, v21, s[4:5] offset:20
	global_load_dword v51, v21, s[4:5] offset:40
	;; [unrolled: 1-line block ×11, first 2 shown]
	ds_read2_b32 v[38:39], v17 offset1:5
	ds_read2_b32 v[40:41], v17 offset0:10 offset1:15
	ds_read2_b32 v[42:43], v17 offset0:20 offset1:25
	;; [unrolled: 1-line block ×5, first 2 shown]
	global_load_dword v61, v21, s[4:5] offset:240
	s_waitcnt lgkmcnt(5)
	v_lshrrev_b32_e32 v62, 16, v38
	v_lshrrev_b32_e32 v63, 16, v39
	s_waitcnt lgkmcnt(4)
	v_lshrrev_b32_e32 v64, 16, v40
	v_lshrrev_b32_e32 v65, 16, v41
	;; [unrolled: 3-line block ×5, first 2 shown]
	s_waitcnt vmcnt(9)
	v_mul_f16_sdwa v74, v65, v52 dst_sel:DWORD dst_unused:UNUSED_PAD src0_sel:DWORD src1_sel:WORD_1
	v_mul_f16_sdwa v75, v41, v52 dst_sel:DWORD dst_unused:UNUSED_PAD src0_sel:DWORD src1_sel:WORD_1
	s_waitcnt vmcnt(8)
	v_mul_f16_sdwa v76, v66, v53 dst_sel:DWORD dst_unused:UNUSED_PAD src0_sel:DWORD src1_sel:WORD_1
	v_mul_f16_sdwa v77, v42, v53 dst_sel:DWORD dst_unused:UNUSED_PAD src0_sel:DWORD src1_sel:WORD_1
	;; [unrolled: 3-line block ×3, first 2 shown]
	v_mul_f16_sdwa v73, v38, v37 dst_sel:DWORD dst_unused:UNUSED_PAD src0_sel:DWORD src1_sel:WORD_1
	v_fma_f16 v38, v38, v37, -v72
	v_fma_f16 v37, v62, v37, v73
	v_pack_b32_f16 v37, v38, v37
	v_mul_f16_sdwa v38, v63, v50 dst_sel:DWORD dst_unused:UNUSED_PAD src0_sel:DWORD src1_sel:WORD_1
	v_mul_f16_sdwa v62, v39, v50 dst_sel:DWORD dst_unused:UNUSED_PAD src0_sel:DWORD src1_sel:WORD_1
	;; [unrolled: 1-line block ×5, first 2 shown]
	s_waitcnt vmcnt(6)
	v_mul_f16_sdwa v80, v68, v55 dst_sel:DWORD dst_unused:UNUSED_PAD src0_sel:DWORD src1_sel:WORD_1
	v_mul_f16_sdwa v81, v44, v55 dst_sel:DWORD dst_unused:UNUSED_PAD src0_sel:DWORD src1_sel:WORD_1
	s_waitcnt vmcnt(5)
	v_mul_f16_sdwa v82, v69, v56 dst_sel:DWORD dst_unused:UNUSED_PAD src0_sel:DWORD src1_sel:WORD_1
	v_mul_f16_sdwa v83, v45, v56 dst_sel:DWORD dst_unused:UNUSED_PAD src0_sel:DWORD src1_sel:WORD_1
	;; [unrolled: 3-line block ×4, first 2 shown]
	v_fma_f16 v38, v39, v50, -v38
	v_fma_f16 v39, v63, v50, v62
	v_fma_f16 v40, v40, v51, -v72
	v_fma_f16 v50, v64, v51, v73
	;; [unrolled: 2-line block ×9, first 2 shown]
	v_pack_b32_f16 v38, v38, v39
	v_pack_b32_f16 v39, v40, v50
	;; [unrolled: 1-line block ×9, first 2 shown]
	ds_write2_b32 v17, v37, v38 offset1:5
	ds_write2_b32 v17, v39, v40 offset0:10 offset1:15
	ds_write2_b32 v17, v41, v42 offset0:20 offset1:25
	;; [unrolled: 1-line block ×4, first 2 shown]
	s_waitcnt lgkmcnt(5)
	v_lshrrev_b32_e32 v37, 16, v48
	s_waitcnt vmcnt(2)
	v_mul_f16_sdwa v38, v37, v59 dst_sel:DWORD dst_unused:UNUSED_PAD src0_sel:DWORD src1_sel:WORD_1
	v_mul_f16_sdwa v39, v48, v59 dst_sel:DWORD dst_unused:UNUSED_PAD src0_sel:DWORD src1_sel:WORD_1
	v_fma_f16 v38, v48, v59, -v38
	v_fma_f16 v37, v37, v59, v39
	ds_read_b32 v40, v17 offset:240
	v_pack_b32_f16 v37, v38, v37
	v_lshrrev_b32_e32 v38, 16, v49
	s_waitcnt vmcnt(1)
	v_mul_f16_sdwa v39, v38, v60 dst_sel:DWORD dst_unused:UNUSED_PAD src0_sel:DWORD src1_sel:WORD_1
	v_mul_f16_sdwa v41, v49, v60 dst_sel:DWORD dst_unused:UNUSED_PAD src0_sel:DWORD src1_sel:WORD_1
	v_fma_f16 v39, v49, v60, -v39
	v_fma_f16 v38, v38, v60, v41
	v_pack_b32_f16 v38, v39, v38
	ds_write2_b32 v17, v37, v38 offset0:50 offset1:55
	s_waitcnt lgkmcnt(1)
	v_lshrrev_b32_e32 v37, 16, v40
	s_waitcnt vmcnt(0)
	v_mul_f16_sdwa v38, v37, v61 dst_sel:DWORD dst_unused:UNUSED_PAD src0_sel:DWORD src1_sel:WORD_1
	v_mul_f16_sdwa v39, v40, v61 dst_sel:DWORD dst_unused:UNUSED_PAD src0_sel:DWORD src1_sel:WORD_1
	v_fma_f16 v38, v40, v61, -v38
	v_fma_f16 v37, v37, v61, v39
	v_pack_b32_f16 v37, v38, v37
	ds_write_b32 v17, v37 offset:240
.LBB0_9:
	s_or_b64 exec, exec, s[0:1]
	s_waitcnt lgkmcnt(0)
	s_barrier
	s_and_saveexec_b64 s[0:1], vcc
	s_cbranch_execz .LBB0_11
; %bb.10:
	ds_read2_b32 v[12:13], v17 offset1:5
	ds_read2_b32 v[14:15], v17 offset0:10 offset1:15
	ds_read2_b32 v[10:11], v17 offset0:20 offset1:25
	;; [unrolled: 1-line block ×5, first 2 shown]
	ds_read_b32 v37, v17 offset:240
	s_mov_b32 s4, 0x5040100
	s_waitcnt lgkmcnt(6)
	v_lshrrev_b32_e32 v18, 16, v12
	v_lshrrev_b32_e32 v19, 16, v13
	s_waitcnt lgkmcnt(5)
	v_lshrrev_b32_e32 v34, 16, v14
	v_lshrrev_b32_e32 v36, 16, v15
	;; [unrolled: 3-line block ×6, first 2 shown]
	s_waitcnt lgkmcnt(0)
	v_perm_b32 v33, v37, v33, s4
	v_alignbit_b32 v32, v32, v37, 16
.LBB0_11:
	s_or_b64 exec, exec, s[0:1]
	s_barrier
	s_and_saveexec_b64 s[0:1], vcc
	s_cbranch_execz .LBB0_13
; %bb.12:
	v_add_f16_e32 v37, v32, v19
	v_mul_f16_e32 v38, 0xbbc4, v37
	v_sub_f16_sdwa v39, v13, v33 dst_sel:DWORD dst_unused:UNUSED_PAD src0_sel:DWORD src1_sel:WORD_1
	s_movk_i32 s23, 0x33a8
	v_add_f16_e32 v41, v26, v34
	v_fma_f16 v40, v39, s23, v38
	v_mul_f16_e32 v42, 0x3b15, v41
	v_sub_f16_e32 v43, v14, v7
	s_mov_b32 s14, 0xb770
	v_add_f16_e32 v40, v18, v40
	v_fma_f16 v44, v43, s14, v42
	v_add_f16_e32 v40, v44, v40
	v_add_f16_e32 v44, v28, v36
	v_mul_f16_e32 v45, 0xb9fd, v44
	v_sub_f16_e32 v46, v15, v6
	s_movk_i32 s20, 0x394e
	v_fma_f16 v47, v46, s20, v45
	v_add_f16_e32 v40, v47, v40
	v_add_f16_e32 v47, v30, v35
	v_mul_f16_e32 v48, 0x388b, v47
	v_sub_f16_e32 v49, v10, v9
	s_mov_b32 s17, 0xba95
	v_fma_f16 v50, v49, s17, v48
	v_add_f16_e32 v40, v50, v40
	v_add_f16_e32 v50, v29, v25
	v_mul_f16_e32 v51, 0xb5ac, v50
	v_sub_f16_e32 v52, v11, v8
	s_movk_i32 s24, 0x3b7b
	v_fma_f16 v53, v52, s24, v51
	v_add_f16_e32 v40, v53, v40
	v_add_f16_e32 v53, v31, v27
	v_mul_f16_e32 v54, 0x2fb7, v53
	v_sub_f16_sdwa v55, v32, v33 dst_sel:DWORD dst_unused:UNUSED_PAD src0_sel:WORD_1 src1_sel:DWORD
	s_mov_b32 s19, 0xbbf1
	v_fma_f16 v56, v55, s19, v54
	v_sub_f16_e32 v57, v19, v32
	s_mov_b32 s4, 0xbbc4
	v_add_f16_e32 v40, v56, v40
	v_add_f16_sdwa v56, v33, v13 dst_sel:DWORD dst_unused:UNUSED_PAD src0_sel:WORD_1 src1_sel:DWORD
	v_mul_f16_e32 v58, 0xb3a8, v57
	v_sub_f16_e32 v61, v34, v26
	s_movk_i32 s6, 0x3b15
	v_fma_f16 v59, v56, s4, v58
	v_add_f16_e32 v60, v7, v14
	v_mul_f16_e32 v62, 0x3770, v61
	v_add_f16_e32 v59, v12, v59
	v_fma_f16 v63, v60, s6, v62
	v_sub_f16_e32 v64, v36, v28
	s_mov_b32 s5, 0xb9fd
	v_add_f16_e32 v59, v63, v59
	v_add_f16_e32 v63, v6, v15
	v_mul_f16_e32 v65, 0xb94e, v64
	v_fma_f16 v66, v63, s5, v65
	v_sub_f16_e32 v67, v35, v30
	s_movk_i32 s7, 0x388b
	v_add_f16_e32 v59, v66, v59
	v_add_f16_e32 v66, v9, v10
	v_mul_f16_e32 v68, 0x3a95, v67
	v_fma_f16 v69, v66, s7, v68
	v_sub_f16_e32 v70, v25, v29
	s_mov_b32 s15, 0xb5ac
	v_add_f16_e32 v59, v69, v59
	v_add_f16_e32 v69, v8, v11
	v_mul_f16_e32 v71, 0xbb7b, v70
	v_fma_f16 v72, v69, s15, v71
	v_sub_f16_e32 v73, v27, v31
	s_movk_i32 s16, 0x2fb7
	v_add_f16_e32 v59, v72, v59
	v_add_f16_sdwa v72, v33, v32 dst_sel:DWORD dst_unused:UNUSED_PAD src0_sel:DWORD src1_sel:WORD_1
	v_mul_f16_e32 v74, 0x3bf1, v73
	v_fma_f16 v75, v72, s16, v74
	v_add_f16_e32 v59, v75, v59
	v_mul_f16_e32 v75, 0xb9fd, v37
	v_fma_f16 v76, v39, s20, v75
	v_mul_f16_e32 v77, 0x2fb7, v41
	v_add_f16_e32 v76, v18, v76
	v_fma_f16 v78, v43, s19, v77
	s_movk_i32 s26, 0x3a95
	v_add_f16_e32 v76, v78, v76
	v_mul_f16_e32 v78, 0x388b, v44
	v_fma_f16 v79, v46, s26, v78
	s_mov_b32 s18, 0xb3a8
	v_add_f16_e32 v76, v79, v76
	v_mul_f16_e32 v79, 0xbbc4, v47
	v_fma_f16 v80, v49, s18, v79
	v_add_f16_e32 v76, v80, v76
	v_mul_f16_e32 v80, 0x3b15, v50
	v_fma_f16 v81, v52, s14, v80
	;; [unrolled: 3-line block ×4, first 2 shown]
	v_mul_f16_e32 v84, 0x3bf1, v61
	v_add_f16_e32 v83, v12, v83
	v_fma_f16 v85, v60, s16, v84
	v_add_f16_e32 v83, v85, v83
	v_mul_f16_e32 v85, 0xba95, v64
	v_fma_f16 v86, v63, s7, v85
	v_add_f16_e32 v83, v86, v83
	v_mul_f16_e32 v86, 0x33a8, v67
	v_fma_f16 v87, v66, s4, v86
	v_add_f16_e32 v13, v13, v12
	v_add_f16_e32 v83, v87, v83
	v_mul_f16_e32 v87, 0x3770, v70
	v_add_f16_e32 v13, v14, v13
	v_fma_f16 v88, v69, s6, v87
	v_add_f16_e32 v13, v15, v13
	v_add_f16_e32 v83, v88, v83
	v_mul_f16_e32 v88, 0xbb7b, v73
	v_add_f16_e32 v10, v10, v13
	v_fma_f16 v89, v72, s15, v88
	v_add_f16_e32 v10, v11, v10
	v_add_f16_e32 v83, v89, v83
	v_mul_f16_e32 v89, 0xb5ac, v37
	v_add_f16_sdwa v10, v32, v10 dst_sel:DWORD dst_unused:UNUSED_PAD src0_sel:WORD_1 src1_sel:DWORD
	s_mov_b32 s21, 0xb94e
	v_fma_f16 v90, v39, s24, v89
	v_mul_f16_e32 v91, 0xb9fd, v41
	v_add_f16_e32 v10, v33, v10
	v_add_f16_e32 v90, v18, v90
	v_fma_f16 v92, v43, s21, v91
	v_add_f16_e32 v8, v8, v10
	v_add_f16_e32 v90, v92, v90
	v_mul_f16_e32 v92, 0x3b15, v44
	v_add_f16_e32 v8, v9, v8
	v_fma_f16 v93, v46, s14, v92
	s_movk_i32 s27, 0x3770
	v_add_f16_e32 v6, v6, v8
	v_fma_f16 v8, v39, s18, v38
	s_movk_i32 s25, 0x3bf1
	v_add_f16_e32 v90, v93, v90
	v_mul_f16_e32 v93, 0x2fb7, v47
	v_add_f16_e32 v6, v7, v6
	v_add_f16_e32 v7, v19, v18
	v_add_f16_e32 v8, v18, v8
	v_fma_f16 v19, v43, s27, v42
	v_fma_f16 v94, v49, s25, v93
	v_add_f16_e32 v8, v19, v8
	v_fma_f16 v19, v46, s21, v45
	s_mov_b32 s22, 0xbb7b
	v_add_f16_e32 v90, v94, v90
	v_mul_f16_e32 v94, 0xbbc4, v50
	v_add_f16_e32 v8, v19, v8
	v_fma_f16 v19, v49, s26, v48
	v_fma_f16 v95, v52, s18, v94
	v_add_f16_e32 v7, v34, v7
	v_add_f16_e32 v8, v19, v8
	v_fma_f16 v19, v52, s22, v51
	v_add_f16_e32 v90, v95, v90
	v_mul_f16_e32 v95, 0x388b, v53
	v_add_f16_e32 v7, v36, v7
	v_add_f16_e32 v8, v19, v8
	v_fma_f16 v19, v55, s25, v54
	v_fma_f16 v96, v55, s17, v95
	v_add_f16_e32 v7, v35, v7
	v_add_f16_e32 v8, v19, v8
	v_fma_f16 v19, v56, s4, -v58
	v_add_f16_e32 v90, v96, v90
	v_mul_f16_e32 v96, 0xbb7b, v57
	v_add_f16_e32 v7, v25, v7
	v_add_f16_e32 v19, v12, v19
	v_fma_f16 v25, v60, s6, -v62
	v_fma_f16 v97, v56, s15, v96
	v_mul_f16_e32 v98, 0x394e, v61
	v_add_f16_e32 v7, v27, v7
	v_add_f16_e32 v19, v25, v19
	v_fma_f16 v25, v63, s5, -v65
	v_add_f16_e32 v97, v12, v97
	v_fma_f16 v99, v60, s5, v98
	v_add_f16_e32 v7, v31, v7
	v_add_f16_e32 v19, v25, v19
	v_fma_f16 v25, v66, s7, -v68
	v_add_f16_e32 v97, v99, v97
	v_mul_f16_e32 v99, 0x3770, v64
	v_add_f16_e32 v7, v29, v7
	v_add_f16_e32 v19, v25, v19
	v_fma_f16 v25, v69, s15, -v71
	v_fma_f16 v100, v63, s6, v99
	v_add_f16_e32 v7, v30, v7
	v_add_f16_e32 v19, v25, v19
	v_fma_f16 v25, v72, s16, -v74
	v_add_f16_e32 v97, v100, v97
	v_mul_f16_e32 v100, 0xbbf1, v67
	v_add_f16_e32 v7, v28, v7
	v_add_f16_e32 v19, v25, v19
	v_fma_f16 v25, v39, s21, v75
	v_fma_f16 v101, v66, s16, v100
	v_add_f16_e32 v7, v26, v7
	v_add_f16_e32 v25, v18, v25
	v_fma_f16 v26, v43, s25, v77
	v_add_f16_e32 v97, v101, v97
	v_mul_f16_e32 v101, 0x33a8, v70
	v_add_f16_e32 v25, v26, v25
	v_fma_f16 v26, v46, s17, v78
	v_fma_f16 v102, v69, s4, v101
	v_add_f16_e32 v25, v26, v25
	v_fma_f16 v26, v49, s23, v79
	v_add_f16_e32 v97, v102, v97
	v_mul_f16_e32 v102, 0x3a95, v73
	v_add_f16_e32 v25, v26, v25
	v_fma_f16 v26, v52, s27, v80
	v_fma_f16 v103, v72, s7, v102
	v_add_f16_e32 v25, v26, v25
	v_fma_f16 v26, v55, s22, v81
	v_add_f16_e32 v97, v103, v97
	v_mul_f16_e32 v103, 0x2fb7, v37
	v_add_f16_e32 v25, v26, v25
	v_fma_f16 v26, v56, s5, -v82
	v_fma_f16 v104, v39, s25, v103
	v_mul_f16_e32 v105, 0xbbc4, v41
	v_add_f16_e32 v26, v12, v26
	v_fma_f16 v27, v60, s16, -v84
	v_add_f16_e32 v104, v18, v104
	v_fma_f16 v106, v43, s23, v105
	v_add_f16_e32 v26, v27, v26
	v_fma_f16 v27, v63, s7, -v85
	v_add_f16_e32 v104, v106, v104
	v_mul_f16_e32 v106, 0xb5ac, v44
	v_add_f16_e32 v26, v27, v26
	v_fma_f16 v27, v66, s4, -v86
	v_fma_f16 v107, v46, s22, v106
	v_add_f16_e32 v26, v27, v26
	v_fma_f16 v27, v69, s6, -v87
	v_add_f16_e32 v104, v107, v104
	v_mul_f16_e32 v107, 0x3b15, v47
	v_add_f16_e32 v26, v27, v26
	v_fma_f16 v27, v72, s15, -v88
	v_fma_f16 v108, v49, s14, v107
	v_add_f16_e32 v26, v27, v26
	v_fma_f16 v27, v39, s22, v89
	v_add_f16_e32 v104, v108, v104
	v_mul_f16_e32 v108, 0x388b, v50
	v_add_f16_e32 v27, v18, v27
	v_fma_f16 v28, v43, s20, v91
	v_fma_f16 v109, v52, s26, v108
	v_add_f16_e32 v27, v28, v27
	v_fma_f16 v28, v46, s27, v92
	v_add_f16_e32 v104, v109, v104
	v_mul_f16_e32 v109, 0xb9fd, v53
	v_add_f16_e32 v27, v28, v27
	v_fma_f16 v28, v49, s19, v93
	;; [unrolled: 7-line block ×3, first 2 shown]
	v_fma_f16 v111, v56, s16, v110
	v_mul_f16_e32 v112, 0xb3a8, v61
	v_add_f16_e32 v27, v28, v27
	v_fma_f16 v28, v56, s15, -v96
	v_add_f16_e32 v111, v12, v111
	v_fma_f16 v113, v60, s4, v112
	v_add_f16_e32 v28, v12, v28
	v_fma_f16 v29, v60, s5, -v98
	v_add_f16_e32 v111, v113, v111
	v_mul_f16_e32 v113, 0x3b7b, v64
	v_add_f16_e32 v28, v29, v28
	v_fma_f16 v29, v63, s6, -v99
	v_fma_f16 v114, v63, s15, v113
	v_add_f16_e32 v28, v29, v28
	v_fma_f16 v29, v66, s16, -v100
	v_add_f16_e32 v111, v114, v111
	v_mul_f16_e32 v114, 0x3770, v67
	v_add_f16_e32 v28, v29, v28
	v_fma_f16 v29, v69, s4, -v101
	v_fma_f16 v115, v66, s6, v114
	v_add_f16_e32 v28, v29, v28
	v_fma_f16 v29, v72, s7, -v102
	v_add_f16_e32 v111, v115, v111
	v_mul_f16_e32 v115, 0xba95, v70
	v_add_f16_e32 v28, v29, v28
	v_fma_f16 v29, v39, s19, v103
	v_fma_f16 v116, v69, s7, v115
	v_add_f16_e32 v29, v18, v29
	v_fma_f16 v30, v43, s18, v105
	v_add_f16_e32 v111, v116, v111
	v_mul_f16_e32 v116, 0xb94e, v73
	v_add_f16_e32 v29, v30, v29
	v_fma_f16 v30, v46, s24, v106
	v_fma_f16 v117, v72, s5, v116
	v_add_f16_e32 v29, v30, v29
	v_fma_f16 v30, v49, s27, v107
	v_add_f16_e32 v111, v117, v111
	v_mul_f16_e32 v117, 0x388b, v37
	v_add_f16_e32 v29, v30, v29
	v_fma_f16 v30, v52, s17, v108
	v_fma_f16 v118, v39, s26, v117
	v_mul_f16_e32 v119, 0xb5ac, v41
	v_add_f16_e32 v29, v30, v29
	v_fma_f16 v30, v55, s21, v109
	v_add_f16_e32 v118, v18, v118
	v_fma_f16 v120, v43, s24, v119
	v_add_f16_e32 v29, v30, v29
	v_fma_f16 v30, v56, s16, -v110
	v_add_f16_e32 v118, v120, v118
	v_mul_f16_e32 v120, 0xbbc4, v44
	v_add_f16_e32 v30, v12, v30
	v_fma_f16 v31, v60, s4, -v112
	v_fma_f16 v121, v46, s23, v120
	v_add_f16_e32 v30, v31, v30
	v_fma_f16 v31, v63, s15, -v113
	v_add_f16_e32 v118, v121, v118
	v_mul_f16_e32 v121, 0xb9fd, v47
	v_add_f16_e32 v30, v31, v30
	v_fma_f16 v31, v66, s6, -v114
	;; [unrolled: 7-line block ×3, first 2 shown]
	v_fma_f16 v123, v52, s19, v122
	v_add_f16_e32 v30, v31, v30
	v_fma_f16 v31, v39, s17, v117
	v_add_f16_e32 v118, v123, v118
	v_mul_f16_e32 v123, 0x3b15, v53
	v_add_f16_e32 v7, v32, v7
	v_add_f16_e32 v31, v18, v31
	v_fma_f16 v32, v43, s22, v119
	v_fma_f16 v124, v55, s14, v123
	v_add_f16_e32 v31, v32, v31
	v_fma_f16 v32, v46, s18, v120
	v_add_f16_e32 v118, v124, v118
	v_mul_f16_e32 v124, 0xba95, v57
	v_add_f16_e32 v31, v32, v31
	v_fma_f16 v32, v49, s20, v121
	v_fma_f16 v125, v56, s7, v124
	v_mul_f16_e32 v126, 0xbb7b, v61
	v_add_f16_e32 v31, v32, v31
	v_fma_f16 v32, v52, s25, v122
	v_add_f16_e32 v125, v12, v125
	v_fma_f16 v127, v60, s15, v126
	v_mul_f16_e32 v14, 0xb3a8, v64
	v_mul_f16_e32 v37, 0x3b15, v37
	v_add_f16_e32 v31, v32, v31
	v_fma_f16 v32, v55, s27, v123
	v_add_f16_e32 v125, v127, v125
	v_fma_f16 v15, v63, s4, v14
	v_fma_f16 v9, v39, s27, v37
	v_mul_f16_e32 v10, 0x388b, v41
	v_add_f16_e32 v31, v32, v31
	v_fma_f16 v32, v56, s7, -v124
	v_add_f16_e32 v15, v15, v125
	v_mul_f16_e32 v125, 0x394e, v67
	v_add_f16_e32 v9, v18, v9
	v_fma_f16 v41, v43, s26, v10
	v_add_f16_sdwa v6, v33, v6 dst_sel:DWORD dst_unused:UNUSED_PAD src0_sel:WORD_1 src1_sel:DWORD
	v_add_f16_e32 v32, v12, v32
	v_fma_f16 v33, v60, s15, -v126
	v_fma_f16 v127, v66, s5, v125
	v_mul_f16_e32 v11, 0x3bf1, v70
	v_add_f16_e32 v9, v41, v9
	v_mul_f16_e32 v41, 0x2fb7, v44
	v_add_f16_e32 v32, v33, v32
	v_fma_f16 v14, v63, s4, -v14
	v_add_f16_e32 v15, v127, v15
	v_fma_f16 v13, v69, s16, v11
	v_fma_f16 v44, v46, s25, v41
	v_add_f16_e32 v14, v14, v32
	v_fma_f16 v32, v66, s5, -v125
	v_add_f16_e32 v13, v13, v15
	v_mul_f16_e32 v15, 0x3770, v73
	v_add_f16_e32 v9, v44, v9
	v_mul_f16_e32 v44, 0xb5ac, v47
	v_add_f16_e32 v14, v32, v14
	v_fma_f16 v11, v69, s16, -v11
	v_fma_f16 v47, v49, s24, v44
	v_add_f16_e32 v11, v11, v14
	v_fma_f16 v14, v72, s6, -v15
	v_add_f16_e32 v9, v47, v9
	v_mul_f16_e32 v47, 0xb9fd, v50
	v_add_f16_e32 v11, v14, v11
	v_fma_f16 v14, v39, s14, v37
	v_fma_f16 v50, v52, s20, v47
	v_add_f16_e32 v14, v18, v14
	v_fma_f16 v10, v43, s17, v10
	v_add_f16_e32 v9, v50, v9
	v_mul_f16_e32 v50, 0xbbc4, v53
	v_add_f16_e32 v10, v10, v14
	v_fma_f16 v14, v46, s19, v41
	v_fma_f16 v53, v55, s23, v50
	v_add_f16_e32 v10, v14, v10
	v_fma_f16 v14, v49, s22, v44
	v_add_f16_e32 v9, v53, v9
	v_mul_f16_e32 v53, 0xb770, v57
	v_add_f16_e32 v10, v14, v10
	v_fma_f16 v14, v52, s21, v47
	v_fma_f16 v127, v72, s6, v15
	;; [unrolled: 1-line block ×3, first 2 shown]
	v_mul_f16_e32 v61, 0xba95, v61
	v_add_f16_e32 v10, v14, v10
	v_fma_f16 v14, v55, s18, v50
	v_add_f16_e32 v13, v127, v13
	v_add_f16_e32 v57, v12, v57
	v_fma_f16 v127, v60, s7, v61
	v_mul_f16_e32 v64, 0xbbf1, v64
	v_add_f16_e32 v10, v14, v10
	v_fma_f16 v14, v56, s6, -v53
	v_add_f16_e32 v57, v127, v57
	v_fma_f16 v127, v63, s16, v64
	v_mul_f16_e32 v67, 0xbb7b, v67
	v_add_f16_e32 v12, v12, v14
	v_fma_f16 v14, v60, s7, -v61
	;; [unrolled: 5-line block ×4, first 2 shown]
	v_add_f16_e32 v57, v127, v57
	v_fma_f16 v127, v72, s4, v73
	v_add_f16_e32 v12, v14, v12
	v_fma_f16 v14, v69, s5, -v70
	v_add_f16_e32 v57, v127, v57
	v_add_f16_e32 v12, v14, v12
	v_fma_f16 v14, v72, s4, -v73
	v_add_f16_e32 v12, v14, v12
	v_lshl_add_u32 v14, v24, 2, v23
	v_pack_b32_f16 v9, v57, v9
	v_pack_b32_f16 v6, v6, v7
	ds_write2_b32 v14, v6, v9 offset1:1
	v_pack_b32_f16 v6, v111, v104
	v_pack_b32_f16 v7, v13, v118
	ds_write2_b32 v14, v7, v6 offset0:2 offset1:3
	v_pack_b32_f16 v6, v83, v76
	v_pack_b32_f16 v7, v97, v90
	ds_write2_b32 v14, v7, v6 offset0:4 offset1:5
	;; [unrolled: 3-line block ×5, first 2 shown]
	v_pack_b32_f16 v6, v12, v10
	ds_write_b32 v14, v6 offset:48
.LBB0_13:
	s_or_b64 exec, exec, s[0:1]
	s_waitcnt lgkmcnt(0)
	s_barrier
	ds_read2_b32 v[6:7], v16 offset1:13
	ds_read2_b32 v[8:9], v16 offset0:26 offset1:39
	ds_read_b32 v10, v16 offset:208
	s_mov_b32 s0, 0xbb9c
	s_movk_i32 s5, 0x3b9c
	s_waitcnt lgkmcnt(2)
	v_lshrrev_b32_e32 v12, 16, v7
	v_mul_f16_sdwa v16, v0, v12 dst_sel:DWORD dst_unused:UNUSED_PAD src0_sel:WORD_1 src1_sel:DWORD
	s_waitcnt lgkmcnt(1)
	v_lshrrev_b32_e32 v13, 16, v8
	v_fma_f16 v16, v0, v7, v16
	v_mul_f16_sdwa v7, v0, v7 dst_sel:DWORD dst_unused:UNUSED_PAD src0_sel:WORD_1 src1_sel:DWORD
	v_fma_f16 v0, v0, v12, -v7
	v_mul_f16_sdwa v7, v1, v13 dst_sel:DWORD dst_unused:UNUSED_PAD src0_sel:WORD_1 src1_sel:DWORD
	v_lshrrev_b32_e32 v14, 16, v9
	v_fma_f16 v7, v1, v8, v7
	v_mul_f16_sdwa v8, v1, v8 dst_sel:DWORD dst_unused:UNUSED_PAD src0_sel:WORD_1 src1_sel:DWORD
	v_fma_f16 v1, v1, v13, -v8
	v_mul_f16_sdwa v8, v2, v14 dst_sel:DWORD dst_unused:UNUSED_PAD src0_sel:WORD_1 src1_sel:DWORD
	s_waitcnt lgkmcnt(0)
	v_lshrrev_b32_e32 v15, 16, v10
	v_fma_f16 v8, v2, v9, v8
	v_mul_f16_sdwa v9, v2, v9 dst_sel:DWORD dst_unused:UNUSED_PAD src0_sel:WORD_1 src1_sel:DWORD
	v_fma_f16 v2, v2, v14, -v9
	v_mul_f16_sdwa v9, v3, v15 dst_sel:DWORD dst_unused:UNUSED_PAD src0_sel:WORD_1 src1_sel:DWORD
	v_fma_f16 v9, v3, v10, v9
	v_mul_f16_sdwa v10, v3, v10 dst_sel:DWORD dst_unused:UNUSED_PAD src0_sel:WORD_1 src1_sel:DWORD
	v_fma_f16 v3, v3, v15, -v10
	v_add_f16_e32 v12, v7, v8
	v_fma_f16 v12, v12, -0.5, v6
	v_sub_f16_e32 v13, v0, v3
	v_fma_f16 v14, v13, s0, v12
	v_sub_f16_e32 v15, v1, v2
	s_mov_b32 s1, 0xb8b4
	v_sub_f16_e32 v18, v16, v7
	v_sub_f16_e32 v19, v9, v8
	v_fma_f16 v12, v13, s5, v12
	s_movk_i32 s6, 0x38b4
	v_fma_f16 v14, v15, s1, v14
	v_add_f16_e32 v18, v18, v19
	s_movk_i32 s4, 0x34f2
	v_fma_f16 v12, v15, s6, v12
	v_add_f16_e32 v10, v6, v16
	v_fma_f16 v14, v18, s4, v14
	v_fma_f16 v12, v18, s4, v12
	v_add_f16_e32 v18, v16, v9
	v_lshrrev_b32_e32 v11, 16, v6
	v_add_f16_e32 v10, v10, v7
	v_fma_f16 v6, v18, -0.5, v6
	v_add_f16_e32 v10, v10, v8
	v_fma_f16 v18, v15, s5, v6
	v_fma_f16 v6, v15, s0, v6
	v_add_f16_e32 v15, v1, v2
	v_add_f16_e32 v10, v10, v9
	v_sub_f16_e32 v19, v7, v16
	v_sub_f16_e32 v23, v8, v9
	v_fma_f16 v15, v15, -0.5, v11
	v_sub_f16_e32 v9, v16, v9
	v_fma_f16 v18, v13, s1, v18
	v_add_f16_e32 v19, v19, v23
	v_fma_f16 v6, v13, s6, v6
	v_fma_f16 v16, v9, s5, v15
	v_sub_f16_e32 v7, v7, v8
	v_fma_f16 v18, v19, s4, v18
	v_fma_f16 v6, v19, s4, v6
	v_fma_f16 v8, v7, s6, v16
	v_sub_f16_e32 v16, v0, v1
	v_sub_f16_e32 v19, v3, v2
	v_fma_f16 v15, v9, s0, v15
	v_add_f16_e32 v16, v16, v19
	v_fma_f16 v15, v7, s1, v15
	v_add_f16_e32 v13, v11, v0
	v_fma_f16 v8, v16, s4, v8
	v_fma_f16 v15, v16, s4, v15
	v_add_f16_e32 v16, v0, v3
	v_add_f16_e32 v13, v13, v1
	v_fma_f16 v11, v16, -0.5, v11
	v_add_f16_e32 v13, v13, v2
	v_fma_f16 v16, v7, s0, v11
	v_sub_f16_e32 v0, v1, v0
	v_sub_f16_e32 v1, v2, v3
	v_fma_f16 v2, v7, s5, v11
	v_fma_f16 v16, v9, s6, v16
	v_add_f16_e32 v0, v0, v1
	v_fma_f16 v2, v9, s1, v2
	v_fma_f16 v1, v0, s4, v16
	;; [unrolled: 1-line block ×3, first 2 shown]
	v_add_f16_e32 v13, v13, v3
	v_pack_b32_f16 v1, v18, v1
	v_pack_b32_f16 v0, v6, v0
	;; [unrolled: 1-line block ×4, first 2 shown]
	ds_write2_b32 v17, v1, v0 offset0:26 offset1:39
	v_pack_b32_f16 v0, v12, v15
	ds_write2_b32 v17, v2, v3 offset1:13
	ds_write_b32 v17, v0 offset:208
	s_waitcnt lgkmcnt(0)
	s_barrier
	s_and_b64 exec, exec, vcc
	s_cbranch_execz .LBB0_15
; %bb.14:
	global_load_dword v7, v21, s[12:13]
	ds_read_b32 v15, v17
	global_load_dword v9, v21, s[12:13] offset:20
	global_load_dword v10, v21, s[12:13] offset:40
	;; [unrolled: 1-line block ×7, first 2 shown]
	v_mad_u64_u32 v[2:3], s[0:1], s10, v4, 0
	v_mov_b32_e32 v16, v3
	s_waitcnt lgkmcnt(0)
	v_lshrrev_b32_e32 v3, 16, v15
	s_mov_b32 s6, 0x1f81f820
	s_mov_b32 s7, 0x3f8f81f8
	s_movk_i32 s10, 0x1ff
	s_movk_i32 s14, 0xffe
	s_mov_b32 s16, 0x8000
	v_mov_b32_e32 v0, s2
	v_mov_b32_e32 v1, s3
	v_mov_b32_e32 v6, 0x7c00
	s_movk_i32 s15, 0x40f
	s_waitcnt vmcnt(7)
	v_mul_f16_sdwa v17, v3, v7 dst_sel:DWORD dst_unused:UNUSED_PAD src0_sel:DWORD src1_sel:WORD_1
	v_mul_f16_sdwa v18, v15, v7 dst_sel:DWORD dst_unused:UNUSED_PAD src0_sel:DWORD src1_sel:WORD_1
	v_fma_f16 v15, v15, v7, v17
	v_fma_f16 v3, v7, v3, -v18
	v_cvt_f32_f16_e32 v7, v15
	v_cvt_f32_f16_e32 v15, v3
	v_mad_u64_u32 v[16:17], s[0:1], s11, v4, v[16:17]
	v_mov_b32_e32 v3, v16
	v_cvt_f64_f32_e32 v[16:17], v7
	v_cvt_f64_f32_e32 v[18:19], v15
	v_mul_f64 v[16:17], v[16:17], s[6:7]
	v_mul_f64 v[18:19], v[18:19], s[6:7]
	v_and_or_b32 v4, v17, s10, v16
	v_and_or_b32 v16, v19, s10, v18
	v_cmp_ne_u32_e32 vcc, 0, v4
	v_lshrrev_b32_e32 v7, 8, v17
	v_bfe_u32 v15, v17, 20, 11
	v_cndmask_b32_e64 v4, 0, 1, vcc
	v_cmp_ne_u32_e32 vcc, 0, v16
	v_and_b32_sdwa v23, v17, s16 dst_sel:DWORD dst_unused:UNUSED_PAD src0_sel:WORD_1 src1_sel:DWORD
	v_lshrrev_b32_e32 v17, 8, v19
	v_bfe_u32 v18, v19, 20, 11
	v_sub_u32_e32 v24, 0x3f1, v15
	v_cndmask_b32_e64 v16, 0, 1, vcc
	v_and_or_b32 v4, v7, s14, v4
	v_sub_u32_e32 v25, 0x3f1, v18
	v_med3_i32 v7, v24, 0, 13
	v_and_or_b32 v16, v17, s14, v16
	v_or_b32_e32 v24, 0x1000, v4
	v_add_u32_e32 v15, 0xfffffc10, v15
	v_med3_i32 v17, v25, 0, 13
	v_cmp_ne_u32_e32 vcc, 0, v4
	v_or_b32_e32 v26, 0x1000, v16
	v_lshrrev_b32_e32 v28, v7, v24
	v_add_u32_e32 v18, 0xfffffc10, v18
	v_lshl_or_b32 v25, v15, 12, v4
	v_cndmask_b32_e64 v4, 0, 1, vcc
	v_cmp_ne_u32_e32 vcc, 0, v16
	v_lshrrev_b32_e32 v29, v17, v26
	v_lshlrev_b32_e32 v7, v7, v28
	v_lshl_or_b32 v27, v18, 12, v16
	v_cndmask_b32_e64 v16, 0, 1, vcc
	v_lshlrev_b32_e32 v17, v17, v29
	v_cmp_ne_u32_e32 vcc, v7, v24
	v_lshl_or_b32 v4, v4, 9, v6
	v_lshl_or_b32 v16, v16, 9, v6
	v_cndmask_b32_e64 v7, 0, 1, vcc
	v_cmp_ne_u32_e32 vcc, v17, v26
	v_or_b32_e32 v7, v28, v7
	v_lshrrev_b32_e32 v19, 16, v19
	v_cndmask_b32_e64 v17, 0, 1, vcc
	v_cmp_gt_i32_e32 vcc, 1, v15
	v_or_b32_e32 v17, v29, v17
	v_lshl_add_u64 v[0:1], v[2:3], 2, v[0:1]
	v_cndmask_b32_e32 v7, v25, v7, vcc
	v_cmp_gt_i32_e32 vcc, 1, v18
	v_and_b32_e32 v24, 7, v7
	v_cmp_eq_u32_e64 s[0:1], 3, v24
	v_cndmask_b32_e32 v17, v27, v17, vcc
	v_cmp_lt_i32_e32 vcc, 5, v24
	v_lshrrev_b32_e32 v7, 2, v7
	v_and_b32_e32 v25, 7, v17
	s_or_b64 vcc, s[0:1], vcc
	v_cmp_lt_i32_e64 s[2:3], 5, v25
	v_cmp_eq_u32_e64 s[4:5], 3, v25
	v_addc_co_u32_e32 v7, vcc, 0, v7, vcc
	v_lshrrev_b32_e32 v17, 2, v17
	s_or_b64 vcc, s[4:5], s[2:3]
	v_addc_co_u32_e32 v17, vcc, 0, v17, vcc
	v_cmp_gt_i32_e32 vcc, 31, v15
	s_mov_b32 s2, 0xffff
	s_mul_i32 s3, s9, 20
	v_cndmask_b32_e32 v7, v6, v7, vcc
	v_cmp_gt_i32_e32 vcc, 31, v18
	s_nop 1
	v_cndmask_b32_e32 v17, v6, v17, vcc
	v_cmp_eq_u32_e32 vcc, s15, v15
	s_nop 1
	v_cndmask_b32_e32 v15, v7, v4, vcc
	v_cmp_eq_u32_e32 vcc, s15, v18
	v_lshl_add_u32 v7, v22, 2, v21
	v_bitop3_b32 v15, v23, s2, v15 bitop3:0xc8
	v_cndmask_b32_e32 v4, v17, v16, vcc
	v_mad_u64_u32 v[16:17], s[0:1], s8, v5, 0
	v_and_or_b32 v18, v19, s16, v4
	v_mov_b32_e32 v4, v17
	v_mad_u64_u32 v[4:5], s[0:1], s9, v5, v[4:5]
	v_mov_b32_e32 v17, v4
	ds_read2_b32 v[4:5], v7 offset0:5 offset1:10
	v_lshl_or_b32 v15, v18, 16, v15
	v_lshl_add_u64 v[16:17], v[16:17], 2, v[0:1]
	global_store_dword v[16:17], v15, off
	s_waitcnt lgkmcnt(0)
	v_lshrrev_b32_e32 v22, 16, v4
	s_waitcnt vmcnt(7)
	v_mul_f16_sdwa v2, v22, v9 dst_sel:DWORD dst_unused:UNUSED_PAD src0_sel:DWORD src1_sel:WORD_1
	v_fma_f16 v2, v4, v9, v2
	v_cvt_f32_f16_e32 v18, v2
	v_mul_f16_sdwa v4, v4, v9 dst_sel:DWORD dst_unused:UNUSED_PAD src0_sel:DWORD src1_sel:WORD_1
	v_fma_f16 v4, v9, v22, -v4
	v_cvt_f32_f16_e32 v4, v4
	v_cvt_f64_f32_e32 v[18:19], v18
	v_mul_f64 v[18:19], v[18:19], s[6:7]
	v_and_or_b32 v15, v19, s10, v18
	v_cmp_ne_u32_e32 vcc, 0, v15
	v_lshrrev_b32_e32 v18, 8, v19
	v_bfe_u32 v23, v19, 20, 11
	v_cndmask_b32_e64 v15, 0, 1, vcc
	v_and_or_b32 v15, v18, s14, v15
	v_sub_u32_e32 v24, 0x3f1, v23
	v_or_b32_e32 v18, 0x1000, v15
	v_med3_i32 v24, v24, 0, 13
	v_lshrrev_b32_e32 v25, v24, v18
	v_lshlrev_b32_e32 v24, v24, v25
	v_cmp_ne_u32_e32 vcc, v24, v18
	v_add_u32_e32 v23, 0xfffffc10, v23
	v_lshl_or_b32 v24, v23, 12, v15
	v_cndmask_b32_e64 v18, 0, 1, vcc
	v_or_b32_e32 v18, v25, v18
	v_cmp_gt_i32_e32 vcc, 1, v23
	ds_read2_b32 v[2:3], v7 offset0:15 offset1:20
	s_nop 0
	v_cndmask_b32_e32 v18, v24, v18, vcc
	v_and_b32_e32 v24, 7, v18
	v_cmp_lt_i32_e32 vcc, 5, v24
	v_cmp_eq_u32_e64 s[0:1], 3, v24
	v_lshrrev_b32_e32 v18, 2, v18
	s_or_b64 vcc, s[0:1], vcc
	v_addc_co_u32_e32 v18, vcc, 0, v18, vcc
	v_cmp_gt_i32_e32 vcc, 31, v23
	s_nop 1
	v_cndmask_b32_e32 v18, v6, v18, vcc
	v_cmp_ne_u32_e32 vcc, 0, v15
	s_nop 1
	v_cndmask_b32_e64 v15, 0, 1, vcc
	v_lshl_or_b32 v15, v15, 9, v6
	v_cmp_eq_u32_e32 vcc, s15, v23
	s_nop 1
	v_cndmask_b32_e32 v9, v18, v15, vcc
	v_and_b32_sdwa v15, v19, s16 dst_sel:DWORD dst_unused:UNUSED_PAD src0_sel:WORD_1 src1_sel:DWORD
	v_cvt_f64_f32_e32 v[18:19], v4
	v_mul_f64 v[18:19], v[18:19], s[6:7]
	v_and_or_b32 v4, v19, s10, v18
	v_cmp_ne_u32_e32 vcc, 0, v4
	v_lshrrev_b32_e32 v18, 8, v19
	v_bfe_u32 v22, v19, 20, 11
	v_cndmask_b32_e64 v4, 0, 1, vcc
	v_and_or_b32 v4, v18, s14, v4
	v_sub_u32_e32 v23, 0x3f1, v22
	v_or_b32_e32 v18, 0x1000, v4
	v_med3_i32 v23, v23, 0, 13
	v_lshrrev_b32_e32 v24, v23, v18
	v_lshlrev_b32_e32 v23, v23, v24
	v_cmp_ne_u32_e32 vcc, v23, v18
	v_add_u32_e32 v22, 0xfffffc10, v22
	v_lshl_or_b32 v23, v22, 12, v4
	v_cndmask_b32_e64 v18, 0, 1, vcc
	v_or_b32_e32 v18, v24, v18
	v_cmp_gt_i32_e32 vcc, 1, v22
	v_bitop3_b32 v9, v15, s2, v9 bitop3:0xc8
	s_nop 0
	v_cndmask_b32_e32 v18, v23, v18, vcc
	v_and_b32_e32 v23, 7, v18
	v_cmp_lt_i32_e32 vcc, 5, v23
	v_cmp_eq_u32_e64 s[0:1], 3, v23
	v_lshrrev_b32_e32 v18, 2, v18
	s_or_b64 vcc, s[0:1], vcc
	v_addc_co_u32_e32 v18, vcc, 0, v18, vcc
	v_cmp_gt_i32_e32 vcc, 31, v22
	v_mad_u64_u32 v[16:17], s[0:1], s8, 20, v[16:17]
	s_nop 0
	v_cndmask_b32_e32 v18, v6, v18, vcc
	v_cmp_ne_u32_e32 vcc, 0, v4
	v_add_u32_e32 v17, s3, v17
	s_nop 0
	v_cndmask_b32_e64 v4, 0, 1, vcc
	v_lshl_or_b32 v4, v4, 9, v6
	v_cmp_eq_u32_e32 vcc, s15, v22
	s_nop 1
	v_cndmask_b32_e32 v4, v18, v4, vcc
	v_lshrrev_b32_e32 v18, 16, v19
	v_and_or_b32 v4, v18, s16, v4
	v_lshl_or_b32 v4, v4, 16, v9
	v_lshrrev_b32_e32 v9, 16, v5
	s_waitcnt vmcnt(6)
	v_mul_f16_sdwa v15, v9, v10 dst_sel:DWORD dst_unused:UNUSED_PAD src0_sel:DWORD src1_sel:WORD_1
	v_fma_f16 v15, v5, v10, v15
	v_cvt_f32_f16_e32 v15, v15
	global_store_dword v[16:17], v4, off
	v_mul_f16_sdwa v5, v5, v10 dst_sel:DWORD dst_unused:UNUSED_PAD src0_sel:DWORD src1_sel:WORD_1
	v_fma_f16 v5, v10, v9, -v5
	v_cvt_f64_f32_e32 v[18:19], v15
	v_mul_f64 v[18:19], v[18:19], s[6:7]
	v_and_or_b32 v4, v19, s10, v18
	v_cmp_ne_u32_e32 vcc, 0, v4
	v_lshrrev_b32_e32 v15, 8, v19
	v_bfe_u32 v18, v19, 20, 11
	v_cndmask_b32_e64 v4, 0, 1, vcc
	v_and_or_b32 v4, v15, s14, v4
	v_sub_u32_e32 v22, 0x3f1, v18
	v_or_b32_e32 v15, 0x1000, v4
	v_med3_i32 v22, v22, 0, 13
	v_lshrrev_b32_e32 v23, v22, v15
	v_lshlrev_b32_e32 v22, v22, v23
	v_cmp_ne_u32_e32 vcc, v22, v15
	v_add_u32_e32 v18, 0xfffffc10, v18
	v_lshl_or_b32 v22, v18, 12, v4
	v_cndmask_b32_e64 v15, 0, 1, vcc
	v_or_b32_e32 v15, v23, v15
	v_cmp_gt_i32_e32 vcc, 1, v18
	v_cvt_f32_f16_e32 v5, v5
	v_and_b32_sdwa v10, v19, s16 dst_sel:DWORD dst_unused:UNUSED_PAD src0_sel:WORD_1 src1_sel:DWORD
	v_cndmask_b32_e32 v15, v22, v15, vcc
	v_and_b32_e32 v22, 7, v15
	v_cmp_lt_i32_e32 vcc, 5, v22
	v_cmp_eq_u32_e64 s[0:1], 3, v22
	v_lshrrev_b32_e32 v15, 2, v15
	s_or_b64 vcc, s[0:1], vcc
	v_addc_co_u32_e32 v15, vcc, 0, v15, vcc
	v_cmp_gt_i32_e32 vcc, 31, v18
	s_nop 1
	v_cndmask_b32_e32 v15, v6, v15, vcc
	v_cmp_ne_u32_e32 vcc, 0, v4
	s_nop 1
	v_cndmask_b32_e64 v4, 0, 1, vcc
	v_lshl_or_b32 v4, v4, 9, v6
	v_cmp_eq_u32_e32 vcc, s15, v18
	s_nop 1
	v_cndmask_b32_e32 v9, v15, v4, vcc
	v_cvt_f64_f32_e32 v[4:5], v5
	v_mul_f64 v[4:5], v[4:5], s[6:7]
	v_and_or_b32 v4, v5, s10, v4
	v_cmp_ne_u32_e32 vcc, 0, v4
	v_lshrrev_b32_e32 v15, 8, v5
	v_bfe_u32 v18, v5, 20, 11
	v_cndmask_b32_e64 v4, 0, 1, vcc
	v_and_or_b32 v4, v15, s14, v4
	v_sub_u32_e32 v19, 0x3f1, v18
	v_or_b32_e32 v15, 0x1000, v4
	v_med3_i32 v19, v19, 0, 13
	v_lshrrev_b32_e32 v22, v19, v15
	v_lshlrev_b32_e32 v19, v19, v22
	v_cmp_ne_u32_e32 vcc, v19, v15
	v_add_u32_e32 v18, 0xfffffc10, v18
	v_lshl_or_b32 v19, v18, 12, v4
	v_cndmask_b32_e64 v15, 0, 1, vcc
	v_or_b32_e32 v15, v22, v15
	v_cmp_gt_i32_e32 vcc, 1, v18
	v_lshrrev_b32_e32 v5, 16, v5
	s_nop 0
	v_cndmask_b32_e32 v15, v19, v15, vcc
	v_and_b32_e32 v19, 7, v15
	v_cmp_lt_i32_e32 vcc, 5, v19
	v_cmp_eq_u32_e64 s[0:1], 3, v19
	v_lshrrev_b32_e32 v15, 2, v15
	s_or_b64 vcc, s[0:1], vcc
	v_addc_co_u32_e32 v15, vcc, 0, v15, vcc
	v_cmp_gt_i32_e32 vcc, 31, v18
	s_nop 1
	v_cndmask_b32_e32 v15, v6, v15, vcc
	v_cmp_ne_u32_e32 vcc, 0, v4
	s_nop 1
	v_cndmask_b32_e64 v4, 0, 1, vcc
	v_lshl_or_b32 v4, v4, 9, v6
	v_cmp_eq_u32_e32 vcc, s15, v18
	s_nop 1
	v_cndmask_b32_e32 v4, v15, v4, vcc
	v_and_or_b32 v4, v5, s16, v4
	v_bitop3_b32 v5, v10, s2, v9 bitop3:0xc8
	s_waitcnt lgkmcnt(0)
	v_lshrrev_b32_e32 v10, 16, v2
	v_lshl_or_b32 v9, v4, 16, v5
	s_waitcnt vmcnt(6)
	v_mul_f16_sdwa v4, v10, v11 dst_sel:DWORD dst_unused:UNUSED_PAD src0_sel:DWORD src1_sel:WORD_1
	v_fma_f16 v4, v2, v11, v4
	v_cvt_f32_f16_e32 v15, v4
	v_mad_u64_u32 v[4:5], s[0:1], s8, 20, v[16:17]
	v_add_u32_e32 v5, s3, v5
	v_cvt_f64_f32_e32 v[16:17], v15
	v_mul_f64 v[16:17], v[16:17], s[6:7]
	global_store_dword v[4:5], v9, off
	v_and_or_b32 v9, v17, s10, v16
	v_cmp_ne_u32_e32 vcc, 0, v9
	v_lshrrev_b32_e32 v15, 8, v17
	v_bfe_u32 v16, v17, 20, 11
	v_cndmask_b32_e64 v9, 0, 1, vcc
	v_and_or_b32 v9, v15, s14, v9
	v_sub_u32_e32 v18, 0x3f1, v16
	v_or_b32_e32 v15, 0x1000, v9
	v_med3_i32 v18, v18, 0, 13
	v_lshrrev_b32_e32 v19, v18, v15
	v_lshlrev_b32_e32 v18, v18, v19
	v_cmp_ne_u32_e32 vcc, v18, v15
	v_add_u32_e32 v16, 0xfffffc10, v16
	v_lshl_or_b32 v18, v16, 12, v9
	v_cndmask_b32_e64 v15, 0, 1, vcc
	v_or_b32_e32 v15, v19, v15
	v_cmp_gt_i32_e32 vcc, 1, v16
	v_mul_f16_sdwa v2, v2, v11 dst_sel:DWORD dst_unused:UNUSED_PAD src0_sel:DWORD src1_sel:WORD_1
	v_fma_f16 v2, v11, v10, -v2
	v_cndmask_b32_e32 v15, v18, v15, vcc
	v_and_b32_e32 v18, 7, v15
	v_cmp_lt_i32_e32 vcc, 5, v18
	v_cmp_eq_u32_e64 s[0:1], 3, v18
	v_cvt_f32_f16_e32 v2, v2
	v_lshrrev_b32_e32 v15, 2, v15
	s_or_b64 vcc, s[0:1], vcc
	v_addc_co_u32_e32 v15, vcc, 0, v15, vcc
	v_cmp_gt_i32_e32 vcc, 31, v16
	v_cvt_f64_f32_e32 v[10:11], v2
	v_mul_f64 v[10:11], v[10:11], s[6:7]
	v_cndmask_b32_e32 v15, v6, v15, vcc
	v_cmp_ne_u32_e32 vcc, 0, v9
	v_and_or_b32 v2, v11, s10, v10
	v_lshrrev_b32_e32 v10, 8, v11
	v_cndmask_b32_e64 v9, 0, 1, vcc
	v_lshl_or_b32 v9, v9, 9, v6
	v_cmp_eq_u32_e32 vcc, s15, v16
	v_bfe_u32 v16, v11, 20, 11
	s_nop 0
	v_cndmask_b32_e32 v9, v15, v9, vcc
	v_cmp_ne_u32_e32 vcc, 0, v2
	v_and_b32_sdwa v15, v17, s16 dst_sel:DWORD dst_unused:UNUSED_PAD src0_sel:WORD_1 src1_sel:DWORD
	v_sub_u32_e32 v17, 0x3f1, v16
	v_cndmask_b32_e64 v2, 0, 1, vcc
	v_and_or_b32 v2, v10, s14, v2
	v_or_b32_e32 v10, 0x1000, v2
	v_med3_i32 v17, v17, 0, 13
	v_lshrrev_b32_e32 v18, v17, v10
	v_lshlrev_b32_e32 v17, v17, v18
	v_cmp_ne_u32_e32 vcc, v17, v10
	v_add_u32_e32 v16, 0xfffffc10, v16
	v_lshl_or_b32 v17, v16, 12, v2
	v_cndmask_b32_e64 v10, 0, 1, vcc
	v_or_b32_e32 v10, v18, v10
	v_cmp_gt_i32_e32 vcc, 1, v16
	v_bitop3_b32 v9, v15, s2, v9 bitop3:0xc8
	s_nop 0
	v_cndmask_b32_e32 v10, v17, v10, vcc
	v_and_b32_e32 v17, 7, v10
	v_cmp_lt_i32_e32 vcc, 5, v17
	v_cmp_eq_u32_e64 s[0:1], 3, v17
	v_lshrrev_b32_e32 v10, 2, v10
	s_or_b64 vcc, s[0:1], vcc
	v_addc_co_u32_e32 v10, vcc, 0, v10, vcc
	v_cmp_gt_i32_e32 vcc, 31, v16
	v_mad_u64_u32 v[4:5], s[0:1], s8, 20, v[4:5]
	s_nop 0
	v_cndmask_b32_e32 v10, v6, v10, vcc
	v_cmp_ne_u32_e32 vcc, 0, v2
	v_add_u32_e32 v5, s3, v5
	s_nop 0
	v_cndmask_b32_e64 v2, 0, 1, vcc
	v_lshl_or_b32 v2, v2, 9, v6
	v_cmp_eq_u32_e32 vcc, s15, v16
	s_nop 1
	v_cndmask_b32_e32 v2, v10, v2, vcc
	v_lshrrev_b32_e32 v10, 16, v11
	v_and_or_b32 v2, v10, s16, v2
	v_lshl_or_b32 v2, v2, 16, v9
	v_lshrrev_b32_e32 v9, 16, v3
	s_waitcnt vmcnt(6)
	v_mul_f16_sdwa v10, v9, v12 dst_sel:DWORD dst_unused:UNUSED_PAD src0_sel:DWORD src1_sel:WORD_1
	v_fma_f16 v10, v3, v12, v10
	v_cvt_f32_f16_e32 v10, v10
	global_store_dword v[4:5], v2, off
	v_mul_f16_sdwa v3, v3, v12 dst_sel:DWORD dst_unused:UNUSED_PAD src0_sel:DWORD src1_sel:WORD_1
	v_fma_f16 v3, v12, v9, -v3
	v_cvt_f64_f32_e32 v[10:11], v10
	v_mul_f64 v[10:11], v[10:11], s[6:7]
	v_and_or_b32 v2, v11, s10, v10
	v_cmp_ne_u32_e32 vcc, 0, v2
	v_lshrrev_b32_e32 v10, 8, v11
	v_bfe_u32 v15, v11, 20, 11
	v_cndmask_b32_e64 v2, 0, 1, vcc
	v_and_or_b32 v2, v10, s14, v2
	v_sub_u32_e32 v16, 0x3f1, v15
	v_or_b32_e32 v10, 0x1000, v2
	v_med3_i32 v16, v16, 0, 13
	v_lshrrev_b32_e32 v17, v16, v10
	v_lshlrev_b32_e32 v16, v16, v17
	v_cmp_ne_u32_e32 vcc, v16, v10
	v_add_u32_e32 v15, 0xfffffc10, v15
	v_lshl_or_b32 v16, v15, 12, v2
	v_cndmask_b32_e64 v10, 0, 1, vcc
	v_or_b32_e32 v10, v17, v10
	v_cmp_gt_i32_e32 vcc, 1, v15
	v_cvt_f32_f16_e32 v3, v3
	v_and_b32_sdwa v12, v11, s16 dst_sel:DWORD dst_unused:UNUSED_PAD src0_sel:WORD_1 src1_sel:DWORD
	v_cndmask_b32_e32 v10, v16, v10, vcc
	v_and_b32_e32 v16, 7, v10
	v_cmp_lt_i32_e32 vcc, 5, v16
	v_cmp_eq_u32_e64 s[0:1], 3, v16
	v_lshrrev_b32_e32 v10, 2, v10
	s_or_b64 vcc, s[0:1], vcc
	v_addc_co_u32_e32 v10, vcc, 0, v10, vcc
	v_cmp_gt_i32_e32 vcc, 31, v15
	s_nop 1
	v_cndmask_b32_e32 v10, v6, v10, vcc
	v_cmp_ne_u32_e32 vcc, 0, v2
	s_nop 1
	v_cndmask_b32_e64 v2, 0, 1, vcc
	v_lshl_or_b32 v2, v2, 9, v6
	v_cmp_eq_u32_e32 vcc, s15, v15
	s_nop 1
	v_cndmask_b32_e32 v9, v10, v2, vcc
	v_cvt_f64_f32_e32 v[2:3], v3
	v_mul_f64 v[2:3], v[2:3], s[6:7]
	v_and_or_b32 v2, v3, s10, v2
	v_cmp_ne_u32_e32 vcc, 0, v2
	v_lshrrev_b32_e32 v10, 8, v3
	v_bfe_u32 v11, v3, 20, 11
	v_cndmask_b32_e64 v2, 0, 1, vcc
	v_and_or_b32 v2, v10, s14, v2
	v_sub_u32_e32 v15, 0x3f1, v11
	v_or_b32_e32 v10, 0x1000, v2
	v_med3_i32 v15, v15, 0, 13
	v_lshrrev_b32_e32 v16, v15, v10
	v_lshlrev_b32_e32 v15, v15, v16
	v_cmp_ne_u32_e32 vcc, v15, v10
	v_add_u32_e32 v11, 0xfffffc10, v11
	v_lshl_or_b32 v15, v11, 12, v2
	v_cndmask_b32_e64 v10, 0, 1, vcc
	v_or_b32_e32 v10, v16, v10
	v_cmp_gt_i32_e32 vcc, 1, v11
	v_lshrrev_b32_e32 v3, 16, v3
	s_nop 0
	v_cndmask_b32_e32 v10, v15, v10, vcc
	v_and_b32_e32 v15, 7, v10
	v_cmp_lt_i32_e32 vcc, 5, v15
	v_cmp_eq_u32_e64 s[0:1], 3, v15
	v_lshrrev_b32_e32 v10, 2, v10
	s_or_b64 vcc, s[0:1], vcc
	v_addc_co_u32_e32 v10, vcc, 0, v10, vcc
	v_cmp_gt_i32_e32 vcc, 31, v11
	s_nop 1
	v_cndmask_b32_e32 v10, v6, v10, vcc
	v_cmp_ne_u32_e32 vcc, 0, v2
	s_nop 1
	v_cndmask_b32_e64 v2, 0, 1, vcc
	v_lshl_or_b32 v2, v2, 9, v6
	v_cmp_eq_u32_e32 vcc, s15, v11
	s_nop 1
	v_cndmask_b32_e32 v2, v10, v2, vcc
	ds_read2_b32 v[10:11], v7 offset0:25 offset1:30
	v_and_or_b32 v2, v3, s16, v2
	v_bitop3_b32 v3, v12, s2, v9 bitop3:0xc8
	v_lshl_or_b32 v9, v2, 16, v3
	s_waitcnt lgkmcnt(0)
	v_lshrrev_b32_e32 v12, 16, v10
	s_waitcnt vmcnt(6)
	v_mul_f16_sdwa v2, v12, v13 dst_sel:DWORD dst_unused:UNUSED_PAD src0_sel:DWORD src1_sel:WORD_1
	v_fma_f16 v2, v10, v13, v2
	v_cvt_f32_f16_e32 v15, v2
	v_mad_u64_u32 v[2:3], s[0:1], s8, 20, v[4:5]
	v_add_u32_e32 v3, s3, v3
	v_cvt_f64_f32_e32 v[4:5], v15
	v_mul_f64 v[4:5], v[4:5], s[6:7]
	v_and_or_b32 v4, v5, s10, v4
	v_cmp_ne_u32_e32 vcc, 0, v4
	global_store_dword v[2:3], v9, off
	v_lshrrev_b32_e32 v9, 8, v5
	v_cndmask_b32_e64 v4, 0, 1, vcc
	v_bfe_u32 v15, v5, 20, 11
	v_and_or_b32 v4, v9, s14, v4
	v_sub_u32_e32 v16, 0x3f1, v15
	v_or_b32_e32 v9, 0x1000, v4
	v_med3_i32 v16, v16, 0, 13
	v_lshrrev_b32_e32 v17, v16, v9
	v_lshlrev_b32_e32 v16, v16, v17
	v_cmp_ne_u32_e32 vcc, v16, v9
	v_add_u32_e32 v15, 0xfffffc10, v15
	v_lshl_or_b32 v16, v15, 12, v4
	v_cndmask_b32_e64 v9, 0, 1, vcc
	v_or_b32_e32 v9, v17, v9
	v_cmp_gt_i32_e32 vcc, 1, v15
	v_mul_f16_sdwa v10, v10, v13 dst_sel:DWORD dst_unused:UNUSED_PAD src0_sel:DWORD src1_sel:WORD_1
	v_fma_f16 v10, v13, v12, -v10
	v_cndmask_b32_e32 v9, v16, v9, vcc
	v_and_b32_e32 v16, 7, v9
	v_cmp_lt_i32_e32 vcc, 5, v16
	v_cmp_eq_u32_e64 s[0:1], 3, v16
	v_lshrrev_b32_e32 v9, 2, v9
	s_or_b64 vcc, s[0:1], vcc
	v_addc_co_u32_e32 v9, vcc, 0, v9, vcc
	v_cmp_gt_i32_e32 vcc, 31, v15
	v_cvt_f32_f16_e32 v10, v10
	v_and_b32_sdwa v12, v5, s16 dst_sel:DWORD dst_unused:UNUSED_PAD src0_sel:WORD_1 src1_sel:DWORD
	v_cndmask_b32_e32 v9, v6, v9, vcc
	v_cmp_ne_u32_e32 vcc, 0, v4
	s_nop 1
	v_cndmask_b32_e64 v4, 0, 1, vcc
	v_lshl_or_b32 v4, v4, 9, v6
	v_cmp_eq_u32_e32 vcc, s15, v15
	s_nop 1
	v_cndmask_b32_e32 v9, v9, v4, vcc
	v_cvt_f64_f32_e32 v[4:5], v10
	v_mul_f64 v[4:5], v[4:5], s[6:7]
	v_and_or_b32 v4, v5, s10, v4
	v_cmp_ne_u32_e32 vcc, 0, v4
	v_lshrrev_b32_e32 v10, 8, v5
	v_bfe_u32 v13, v5, 20, 11
	v_cndmask_b32_e64 v4, 0, 1, vcc
	v_and_or_b32 v4, v10, s14, v4
	v_sub_u32_e32 v15, 0x3f1, v13
	v_or_b32_e32 v10, 0x1000, v4
	v_med3_i32 v15, v15, 0, 13
	v_lshrrev_b32_e32 v16, v15, v10
	v_lshlrev_b32_e32 v15, v15, v16
	v_cmp_ne_u32_e32 vcc, v15, v10
	v_add_u32_e32 v13, 0xfffffc10, v13
	v_lshl_or_b32 v15, v13, 12, v4
	v_cndmask_b32_e64 v10, 0, 1, vcc
	v_or_b32_e32 v10, v16, v10
	v_cmp_gt_i32_e32 vcc, 1, v13
	v_lshrrev_b32_e32 v5, 16, v5
	s_nop 0
	v_cndmask_b32_e32 v10, v15, v10, vcc
	v_and_b32_e32 v15, 7, v10
	v_cmp_lt_i32_e32 vcc, 5, v15
	v_cmp_eq_u32_e64 s[0:1], 3, v15
	v_lshrrev_b32_e32 v10, 2, v10
	s_or_b64 vcc, s[0:1], vcc
	v_addc_co_u32_e32 v10, vcc, 0, v10, vcc
	v_cmp_gt_i32_e32 vcc, 31, v13
	s_nop 1
	v_cndmask_b32_e32 v10, v6, v10, vcc
	v_cmp_ne_u32_e32 vcc, 0, v4
	s_nop 1
	v_cndmask_b32_e64 v4, 0, 1, vcc
	v_lshl_or_b32 v4, v4, 9, v6
	v_cmp_eq_u32_e32 vcc, s15, v13
	s_nop 1
	v_cndmask_b32_e32 v4, v10, v4, vcc
	v_and_or_b32 v4, v5, s16, v4
	v_bitop3_b32 v5, v12, s2, v9 bitop3:0xc8
	v_lshrrev_b32_e32 v10, 16, v11
	v_lshl_or_b32 v9, v4, 16, v5
	s_waitcnt vmcnt(6)
	v_mul_f16_sdwa v4, v10, v14 dst_sel:DWORD dst_unused:UNUSED_PAD src0_sel:DWORD src1_sel:WORD_1
	v_fma_f16 v4, v11, v14, v4
	v_cvt_f32_f16_e32 v12, v4
	v_mad_u64_u32 v[4:5], s[0:1], s8, 20, v[2:3]
	v_add_u32_e32 v5, s3, v5
	v_cvt_f64_f32_e32 v[2:3], v12
	v_mul_f64 v[2:3], v[2:3], s[6:7]
	v_and_or_b32 v2, v3, s10, v2
	v_cmp_ne_u32_e32 vcc, 0, v2
	global_store_dword v[4:5], v9, off
	v_lshrrev_b32_e32 v9, 8, v3
	v_cndmask_b32_e64 v2, 0, 1, vcc
	v_bfe_u32 v12, v3, 20, 11
	v_and_or_b32 v2, v9, s14, v2
	v_sub_u32_e32 v13, 0x3f1, v12
	v_or_b32_e32 v9, 0x1000, v2
	v_med3_i32 v13, v13, 0, 13
	v_lshrrev_b32_e32 v15, v13, v9
	v_lshlrev_b32_e32 v13, v13, v15
	v_cmp_ne_u32_e32 vcc, v13, v9
	v_add_u32_e32 v12, 0xfffffc10, v12
	v_lshl_or_b32 v13, v12, 12, v2
	v_cndmask_b32_e64 v9, 0, 1, vcc
	v_or_b32_e32 v9, v15, v9
	v_cmp_gt_i32_e32 vcc, 1, v12
	v_mul_f16_sdwa v11, v11, v14 dst_sel:DWORD dst_unused:UNUSED_PAD src0_sel:DWORD src1_sel:WORD_1
	v_fma_f16 v10, v14, v10, -v11
	v_cndmask_b32_e32 v9, v13, v9, vcc
	v_and_b32_e32 v13, 7, v9
	v_cmp_lt_i32_e32 vcc, 5, v13
	v_cmp_eq_u32_e64 s[0:1], 3, v13
	v_lshrrev_b32_e32 v9, 2, v9
	s_or_b64 vcc, s[0:1], vcc
	v_addc_co_u32_e32 v9, vcc, 0, v9, vcc
	v_cmp_gt_i32_e32 vcc, 31, v12
	v_cvt_f32_f16_e32 v10, v10
	s_nop 0
	v_cndmask_b32_e32 v9, v6, v9, vcc
	v_cmp_ne_u32_e32 vcc, 0, v2
	s_nop 1
	v_cndmask_b32_e64 v2, 0, 1, vcc
	v_lshl_or_b32 v2, v2, 9, v6
	v_cmp_eq_u32_e32 vcc, s15, v12
	v_and_b32_sdwa v12, v3, s16 dst_sel:DWORD dst_unused:UNUSED_PAD src0_sel:WORD_1 src1_sel:DWORD
	s_nop 0
	v_cndmask_b32_e32 v9, v9, v2, vcc
	v_cvt_f64_f32_e32 v[2:3], v10
	v_mul_f64 v[10:11], v[2:3], s[6:7]
	v_and_or_b32 v2, v11, s10, v10
	v_cmp_ne_u32_e32 vcc, 0, v2
	v_lshrrev_b32_e32 v3, 8, v11
	v_bfe_u32 v10, v11, 20, 11
	v_cndmask_b32_e64 v2, 0, 1, vcc
	v_and_or_b32 v2, v3, s14, v2
	v_sub_u32_e32 v13, 0x3f1, v10
	v_or_b32_e32 v3, 0x1000, v2
	v_med3_i32 v13, v13, 0, 13
	v_lshrrev_b32_e32 v14, v13, v3
	v_lshlrev_b32_e32 v13, v13, v14
	v_cmp_ne_u32_e32 vcc, v13, v3
	v_add_u32_e32 v10, 0xfffffc10, v10
	v_lshl_or_b32 v13, v10, 12, v2
	v_cndmask_b32_e64 v3, 0, 1, vcc
	v_or_b32_e32 v3, v14, v3
	v_cmp_gt_i32_e32 vcc, 1, v10
	v_lshrrev_b32_e32 v11, 16, v11
	v_bitop3_b32 v9, v12, s2, v9 bitop3:0xc8
	v_cndmask_b32_e32 v3, v13, v3, vcc
	v_and_b32_e32 v13, 7, v3
	v_cmp_lt_i32_e32 vcc, 5, v13
	v_cmp_eq_u32_e64 s[0:1], 3, v13
	v_lshrrev_b32_e32 v3, 2, v3
	s_or_b64 vcc, s[0:1], vcc
	v_addc_co_u32_e32 v3, vcc, 0, v3, vcc
	v_cmp_gt_i32_e32 vcc, 31, v10
	global_load_dword v13, v21, s[12:13] offset:160
	v_mad_u64_u32 v[4:5], s[0:1], s8, 20, v[4:5]
	v_cndmask_b32_e32 v3, v6, v3, vcc
	v_cmp_ne_u32_e32 vcc, 0, v2
	v_add_u32_e32 v5, s3, v5
	s_nop 0
	v_cndmask_b32_e64 v2, 0, 1, vcc
	v_lshl_or_b32 v2, v2, 9, v6
	v_cmp_eq_u32_e32 vcc, s15, v10
	s_nop 1
	v_cndmask_b32_e32 v10, v3, v2, vcc
	ds_read2_b32 v[2:3], v7 offset0:35 offset1:40
	v_and_or_b32 v10, v11, s16, v10
	v_lshl_or_b32 v9, v10, 16, v9
	global_store_dword v[4:5], v9, off
	s_waitcnt lgkmcnt(0)
	v_lshrrev_b32_e32 v12, 16, v2
	s_waitcnt vmcnt(8)
	v_mul_f16_sdwa v10, v12, v8 dst_sel:DWORD dst_unused:UNUSED_PAD src0_sel:DWORD src1_sel:WORD_1
	v_fma_f16 v10, v2, v8, v10
	v_cvt_f32_f16_e32 v10, v10
	v_mul_f16_sdwa v2, v2, v8 dst_sel:DWORD dst_unused:UNUSED_PAD src0_sel:DWORD src1_sel:WORD_1
	v_fma_f16 v2, v8, v12, -v2
	v_cvt_f32_f16_e32 v2, v2
	v_cvt_f64_f32_e32 v[10:11], v10
	v_mul_f64 v[10:11], v[10:11], s[6:7]
	v_and_or_b32 v9, v11, s10, v10
	v_cmp_ne_u32_e32 vcc, 0, v9
	v_lshrrev_b32_e32 v10, 8, v11
	v_bfe_u32 v14, v11, 20, 11
	v_cndmask_b32_e64 v9, 0, 1, vcc
	v_and_or_b32 v9, v10, s14, v9
	v_sub_u32_e32 v15, 0x3f1, v14
	v_or_b32_e32 v10, 0x1000, v9
	v_med3_i32 v15, v15, 0, 13
	v_lshrrev_b32_e32 v16, v15, v10
	v_lshlrev_b32_e32 v15, v15, v16
	v_cmp_ne_u32_e32 vcc, v15, v10
	v_add_u32_e32 v14, 0xfffffc10, v14
	v_lshl_or_b32 v15, v14, 12, v9
	v_cndmask_b32_e64 v10, 0, 1, vcc
	v_or_b32_e32 v10, v16, v10
	v_cmp_gt_i32_e32 vcc, 1, v14
	v_and_b32_sdwa v11, v11, s16 dst_sel:DWORD dst_unused:UNUSED_PAD src0_sel:WORD_1 src1_sel:DWORD
	s_nop 0
	v_cndmask_b32_e32 v10, v15, v10, vcc
	v_and_b32_e32 v15, 7, v10
	v_cmp_lt_i32_e32 vcc, 5, v15
	v_cmp_eq_u32_e64 s[0:1], 3, v15
	v_lshrrev_b32_e32 v10, 2, v10
	s_or_b64 vcc, s[0:1], vcc
	v_addc_co_u32_e32 v10, vcc, 0, v10, vcc
	v_cmp_gt_i32_e32 vcc, 31, v14
	s_nop 1
	v_cndmask_b32_e32 v10, v6, v10, vcc
	v_cmp_ne_u32_e32 vcc, 0, v9
	s_nop 1
	v_cndmask_b32_e64 v9, 0, 1, vcc
	v_lshl_or_b32 v9, v9, 9, v6
	v_cmp_eq_u32_e32 vcc, s15, v14
	s_nop 1
	v_cndmask_b32_e32 v10, v10, v9, vcc
	v_cvt_f64_f32_e32 v[8:9], v2
	v_mul_f64 v[8:9], v[8:9], s[6:7]
	v_and_or_b32 v2, v9, s10, v8
	v_cmp_ne_u32_e32 vcc, 0, v2
	v_lshrrev_b32_e32 v8, 8, v9
	v_bfe_u32 v12, v9, 20, 11
	v_cndmask_b32_e64 v2, 0, 1, vcc
	v_and_or_b32 v2, v8, s14, v2
	v_sub_u32_e32 v14, 0x3f1, v12
	v_or_b32_e32 v8, 0x1000, v2
	v_med3_i32 v14, v14, 0, 13
	v_lshrrev_b32_e32 v15, v14, v8
	v_lshlrev_b32_e32 v14, v14, v15
	v_cmp_ne_u32_e32 vcc, v14, v8
	v_add_u32_e32 v12, 0xfffffc10, v12
	v_lshl_or_b32 v14, v12, 12, v2
	v_cndmask_b32_e64 v8, 0, 1, vcc
	v_or_b32_e32 v8, v15, v8
	v_cmp_gt_i32_e32 vcc, 1, v12
	s_nop 1
	v_cndmask_b32_e32 v8, v14, v8, vcc
	v_and_b32_e32 v14, 7, v8
	v_cmp_lt_i32_e32 vcc, 5, v14
	v_cmp_eq_u32_e64 s[0:1], 3, v14
	v_lshrrev_b32_e32 v8, 2, v8
	s_or_b64 vcc, s[0:1], vcc
	v_addc_co_u32_e32 v8, vcc, 0, v8, vcc
	v_cmp_gt_i32_e32 vcc, 31, v12
	v_mad_u64_u32 v[4:5], s[0:1], s8, 20, v[4:5]
	s_nop 0
	v_cndmask_b32_e32 v8, v6, v8, vcc
	v_cmp_ne_u32_e32 vcc, 0, v2
	v_add_u32_e32 v5, s3, v5
	s_nop 0
	v_cndmask_b32_e64 v2, 0, 1, vcc
	v_cmp_eq_u32_e32 vcc, s15, v12
	global_load_dword v12, v21, s[12:13] offset:180
	global_load_dword v14, v21, s[12:13] offset:200
	;; [unrolled: 1-line block ×4, first 2 shown]
	v_lshl_or_b32 v2, v2, 9, v6
	v_cndmask_b32_e32 v2, v8, v2, vcc
	v_lshrrev_b32_e32 v8, 16, v9
	v_and_or_b32 v2, v8, s16, v2
	v_bitop3_b32 v8, v11, s2, v10 bitop3:0xc8
	v_lshrrev_b32_e32 v10, 16, v3
	v_lshl_or_b32 v2, v2, 16, v8
	s_waitcnt vmcnt(5)
	v_mul_f16_sdwa v8, v10, v13 dst_sel:DWORD dst_unused:UNUSED_PAD src0_sel:DWORD src1_sel:WORD_1
	v_fma_f16 v8, v3, v13, v8
	v_cvt_f32_f16_e32 v8, v8
	global_store_dword v[4:5], v2, off
	v_mul_f16_sdwa v3, v3, v13 dst_sel:DWORD dst_unused:UNUSED_PAD src0_sel:DWORD src1_sel:WORD_1
	v_fma_f16 v3, v13, v10, -v3
	v_cvt_f64_f32_e32 v[8:9], v8
	v_mul_f64 v[8:9], v[8:9], s[6:7]
	v_and_or_b32 v2, v9, s10, v8
	v_cmp_ne_u32_e32 vcc, 0, v2
	v_lshrrev_b32_e32 v8, 8, v9
	v_bfe_u32 v11, v9, 20, 11
	v_cndmask_b32_e64 v2, 0, 1, vcc
	v_and_or_b32 v2, v8, s14, v2
	v_sub_u32_e32 v17, 0x3f1, v11
	v_or_b32_e32 v8, 0x1000, v2
	v_med3_i32 v17, v17, 0, 13
	v_lshrrev_b32_e32 v18, v17, v8
	v_lshlrev_b32_e32 v17, v17, v18
	v_cmp_ne_u32_e32 vcc, v17, v8
	v_add_u32_e32 v11, 0xfffffc10, v11
	v_lshl_or_b32 v17, v11, 12, v2
	v_cndmask_b32_e64 v8, 0, 1, vcc
	v_or_b32_e32 v8, v18, v8
	v_cmp_gt_i32_e32 vcc, 1, v11
	v_cvt_f32_f16_e32 v3, v3
	s_nop 0
	v_cndmask_b32_e32 v8, v17, v8, vcc
	v_and_b32_e32 v17, 7, v8
	v_cmp_lt_i32_e32 vcc, 5, v17
	v_cmp_eq_u32_e64 s[0:1], 3, v17
	v_lshrrev_b32_e32 v8, 2, v8
	s_or_b64 vcc, s[0:1], vcc
	v_addc_co_u32_e32 v8, vcc, 0, v8, vcc
	v_cmp_gt_i32_e32 vcc, 31, v11
	v_and_b32_sdwa v17, v9, s16 dst_sel:DWORD dst_unused:UNUSED_PAD src0_sel:WORD_1 src1_sel:DWORD
	s_nop 0
	v_cndmask_b32_e32 v8, v6, v8, vcc
	v_cmp_ne_u32_e32 vcc, 0, v2
	s_nop 1
	v_cndmask_b32_e64 v2, 0, 1, vcc
	v_lshl_or_b32 v2, v2, 9, v6
	v_cmp_eq_u32_e32 vcc, s15, v11
	s_nop 1
	v_cndmask_b32_e32 v13, v8, v2, vcc
	v_cvt_f64_f32_e32 v[2:3], v3
	v_mul_f64 v[2:3], v[2:3], s[6:7]
	v_and_or_b32 v2, v3, s10, v2
	v_cmp_ne_u32_e32 vcc, 0, v2
	v_lshrrev_b32_e32 v8, 8, v3
	v_bfe_u32 v9, v3, 20, 11
	v_cndmask_b32_e64 v2, 0, 1, vcc
	v_and_or_b32 v2, v8, s14, v2
	v_sub_u32_e32 v10, 0x3f1, v9
	v_or_b32_e32 v8, 0x1000, v2
	v_med3_i32 v10, v10, 0, 13
	v_lshrrev_b32_e32 v11, v10, v8
	v_lshlrev_b32_e32 v10, v10, v11
	v_cmp_ne_u32_e32 vcc, v10, v8
	v_add_u32_e32 v9, 0xfffffc10, v9
	v_lshl_or_b32 v10, v9, 12, v2
	v_cndmask_b32_e64 v8, 0, 1, vcc
	v_or_b32_e32 v8, v11, v8
	v_cmp_gt_i32_e32 vcc, 1, v9
	v_lshrrev_b32_e32 v3, 16, v3
	s_nop 0
	v_cndmask_b32_e32 v8, v10, v8, vcc
	v_and_b32_e32 v10, 7, v8
	v_cmp_lt_i32_e32 vcc, 5, v10
	v_cmp_eq_u32_e64 s[0:1], 3, v10
	v_lshrrev_b32_e32 v8, 2, v8
	s_or_b64 vcc, s[0:1], vcc
	v_addc_co_u32_e32 v8, vcc, 0, v8, vcc
	v_cmp_gt_i32_e32 vcc, 31, v9
	ds_read2_b32 v[10:11], v7 offset0:45 offset1:50
	s_nop 0
	v_cndmask_b32_e32 v8, v6, v8, vcc
	v_cmp_ne_u32_e32 vcc, 0, v2
	s_nop 1
	v_cndmask_b32_e64 v2, 0, 1, vcc
	v_lshl_or_b32 v2, v2, 9, v6
	v_cmp_eq_u32_e32 vcc, s15, v9
	s_nop 1
	v_cndmask_b32_e32 v2, v8, v2, vcc
	v_and_or_b32 v18, v3, s16, v2
	v_mad_u64_u32 v[2:3], s[0:1], s8, v20, 0
	v_mov_b32_e32 v8, v3
	v_mad_u64_u32 v[8:9], s[0:1], s9, v20, v[8:9]
	s_waitcnt lgkmcnt(0)
	v_lshrrev_b32_e32 v9, 16, v10
	v_mov_b32_e32 v3, v8
	v_bitop3_b32 v8, v17, s2, v13 bitop3:0xc8
	s_waitcnt vmcnt(4)
	v_mul_f16_sdwa v13, v9, v12 dst_sel:DWORD dst_unused:UNUSED_PAD src0_sel:DWORD src1_sel:WORD_1
	v_fma_f16 v13, v10, v12, v13
	v_cvt_f32_f16_e32 v13, v13
	v_lshl_or_b32 v8, v18, 16, v8
	v_lshl_add_u64 v[0:1], v[2:3], 2, v[0:1]
	global_store_dword v[0:1], v8, off
	v_cvt_f64_f32_e32 v[0:1], v13
	v_mul_f64 v[0:1], v[0:1], s[6:7]
	v_and_or_b32 v0, v1, s10, v0
	v_cmp_ne_u32_e32 vcc, 0, v0
	v_lshrrev_b32_e32 v2, 8, v1
	v_bfe_u32 v3, v1, 20, 11
	v_cndmask_b32_e64 v0, 0, 1, vcc
	v_and_or_b32 v0, v2, s14, v0
	v_sub_u32_e32 v8, 0x3f1, v3
	v_or_b32_e32 v2, 0x1000, v0
	v_med3_i32 v8, v8, 0, 13
	v_lshrrev_b32_e32 v13, v8, v2
	v_lshlrev_b32_e32 v8, v8, v13
	v_cmp_ne_u32_e32 vcc, v8, v2
	v_add_u32_e32 v3, 0xfffffc10, v3
	v_lshl_or_b32 v8, v3, 12, v0
	v_cndmask_b32_e64 v2, 0, 1, vcc
	v_or_b32_e32 v2, v13, v2
	v_cmp_gt_i32_e32 vcc, 1, v3
	s_nop 1
	v_cndmask_b32_e32 v2, v8, v2, vcc
	v_and_b32_e32 v8, 7, v2
	v_cmp_lt_i32_e32 vcc, 5, v8
	v_cmp_eq_u32_e64 s[0:1], 3, v8
	v_lshrrev_b32_e32 v2, 2, v2
	s_or_b64 vcc, s[0:1], vcc
	v_mul_f16_sdwa v8, v10, v12 dst_sel:DWORD dst_unused:UNUSED_PAD src0_sel:DWORD src1_sel:WORD_1
	v_addc_co_u32_e32 v2, vcc, 0, v2, vcc
	v_fma_f16 v8, v12, v9, -v8
	v_cmp_gt_i32_e32 vcc, 31, v3
	v_cvt_f32_f16_e32 v8, v8
	s_nop 0
	v_cndmask_b32_e32 v2, v6, v2, vcc
	v_cmp_ne_u32_e32 vcc, 0, v0
	s_nop 1
	v_cndmask_b32_e64 v0, 0, 1, vcc
	v_lshl_or_b32 v0, v0, 9, v6
	v_cmp_eq_u32_e32 vcc, s15, v3
	v_and_b32_sdwa v3, v1, s16 dst_sel:DWORD dst_unused:UNUSED_PAD src0_sel:WORD_1 src1_sel:DWORD
	s_nop 0
	v_cndmask_b32_e32 v2, v2, v0, vcc
	v_cvt_f64_f32_e32 v[0:1], v8
	v_mul_f64 v[0:1], v[0:1], s[6:7]
	v_and_or_b32 v0, v1, s10, v0
	v_cmp_ne_u32_e32 vcc, 0, v0
	v_lshrrev_b32_e32 v8, 8, v1
	v_bfe_u32 v9, v1, 20, 11
	v_cndmask_b32_e64 v0, 0, 1, vcc
	v_and_or_b32 v0, v8, s14, v0
	v_sub_u32_e32 v10, 0x3f1, v9
	v_or_b32_e32 v8, 0x1000, v0
	v_med3_i32 v10, v10, 0, 13
	v_lshrrev_b32_e32 v12, v10, v8
	v_lshlrev_b32_e32 v10, v10, v12
	v_cmp_ne_u32_e32 vcc, v10, v8
	v_add_u32_e32 v9, 0xfffffc10, v9
	v_lshl_or_b32 v10, v9, 12, v0
	v_cndmask_b32_e64 v8, 0, 1, vcc
	v_or_b32_e32 v8, v12, v8
	v_cmp_gt_i32_e32 vcc, 1, v9
	v_lshrrev_b32_e32 v1, 16, v1
	s_nop 0
	v_cndmask_b32_e32 v8, v10, v8, vcc
	v_and_b32_e32 v10, 7, v8
	v_cmp_lt_i32_e32 vcc, 5, v10
	v_cmp_eq_u32_e64 s[0:1], 3, v10
	v_lshrrev_b32_e32 v8, 2, v8
	s_or_b64 vcc, s[0:1], vcc
	v_addc_co_u32_e32 v8, vcc, 0, v8, vcc
	v_cmp_gt_i32_e32 vcc, 31, v9
	s_nop 1
	v_cndmask_b32_e32 v8, v6, v8, vcc
	v_cmp_ne_u32_e32 vcc, 0, v0
	s_nop 1
	v_cndmask_b32_e64 v0, 0, 1, vcc
	v_lshl_or_b32 v0, v0, 9, v6
	v_cmp_eq_u32_e32 vcc, s15, v9
	s_nop 1
	v_cndmask_b32_e32 v0, v8, v0, vcc
	v_and_or_b32 v0, v1, s16, v0
	v_bitop3_b32 v1, v3, s2, v2 bitop3:0xc8
	v_lshl_or_b32 v8, v0, 16, v1
	v_mad_u64_u32 v[0:1], s[0:1], s8, 40, v[4:5]
	v_lshrrev_b32_e32 v4, 16, v11
	v_mov_b32_e32 v2, v1
	s_waitcnt vmcnt(4)
	v_mul_f16_sdwa v1, v4, v14 dst_sel:DWORD dst_unused:UNUSED_PAD src0_sel:DWORD src1_sel:WORD_1
	v_fma_f16 v1, v11, v14, v1
	v_cvt_f32_f16_e32 v5, v1
	v_mad_u64_u32 v[2:3], s[0:1], s9, 40, v[2:3]
	v_mov_b32_e32 v1, v2
	v_cvt_f64_f32_e32 v[2:3], v5
	v_mul_f64 v[2:3], v[2:3], s[6:7]
	v_and_or_b32 v2, v3, s10, v2
	v_cmp_ne_u32_e32 vcc, 0, v2
	global_store_dword v[0:1], v8, off
	v_lshrrev_b32_e32 v5, 8, v3
	v_cndmask_b32_e64 v2, 0, 1, vcc
	v_bfe_u32 v8, v3, 20, 11
	v_and_or_b32 v2, v5, s14, v2
	v_sub_u32_e32 v9, 0x3f1, v8
	v_or_b32_e32 v5, 0x1000, v2
	v_med3_i32 v9, v9, 0, 13
	v_lshrrev_b32_e32 v10, v9, v5
	v_lshlrev_b32_e32 v9, v9, v10
	v_cmp_ne_u32_e32 vcc, v9, v5
	v_add_u32_e32 v8, 0xfffffc10, v8
	v_lshl_or_b32 v9, v8, 12, v2
	v_cndmask_b32_e64 v5, 0, 1, vcc
	v_or_b32_e32 v5, v10, v5
	v_cmp_gt_i32_e32 vcc, 1, v8
	s_nop 1
	v_cndmask_b32_e32 v5, v9, v5, vcc
	v_and_b32_e32 v9, 7, v5
	v_cmp_lt_i32_e32 vcc, 5, v9
	v_cmp_eq_u32_e64 s[0:1], 3, v9
	v_lshrrev_b32_e32 v5, 2, v5
	s_or_b64 vcc, s[0:1], vcc
	v_mul_f16_sdwa v9, v11, v14 dst_sel:DWORD dst_unused:UNUSED_PAD src0_sel:DWORD src1_sel:WORD_1
	v_addc_co_u32_e32 v5, vcc, 0, v5, vcc
	v_fma_f16 v4, v14, v4, -v9
	v_cmp_gt_i32_e32 vcc, 31, v8
	v_cvt_f32_f16_e32 v4, v4
	v_and_b32_sdwa v9, v3, s16 dst_sel:DWORD dst_unused:UNUSED_PAD src0_sel:WORD_1 src1_sel:DWORD
	v_cndmask_b32_e32 v5, v6, v5, vcc
	v_cmp_ne_u32_e32 vcc, 0, v2
	s_nop 1
	v_cndmask_b32_e64 v2, 0, 1, vcc
	v_lshl_or_b32 v2, v2, 9, v6
	v_cmp_eq_u32_e32 vcc, s15, v8
	s_nop 1
	v_cndmask_b32_e32 v8, v5, v2, vcc
	v_cvt_f64_f32_e32 v[2:3], v4
	v_mul_f64 v[2:3], v[2:3], s[6:7]
	v_and_or_b32 v2, v3, s10, v2
	v_cmp_ne_u32_e32 vcc, 0, v2
	v_lshrrev_b32_e32 v4, 8, v3
	v_bfe_u32 v5, v3, 20, 11
	v_cndmask_b32_e64 v2, 0, 1, vcc
	v_and_or_b32 v2, v4, s14, v2
	v_sub_u32_e32 v10, 0x3f1, v5
	v_or_b32_e32 v4, 0x1000, v2
	v_med3_i32 v10, v10, 0, 13
	v_lshrrev_b32_e32 v11, v10, v4
	v_lshlrev_b32_e32 v10, v10, v11
	v_cmp_ne_u32_e32 vcc, v10, v4
	v_add_u32_e32 v5, 0xfffffc10, v5
	v_lshl_or_b32 v10, v5, 12, v2
	v_cndmask_b32_e64 v4, 0, 1, vcc
	v_or_b32_e32 v4, v11, v4
	v_cmp_gt_i32_e32 vcc, 1, v5
	v_lshrrev_b32_e32 v3, 16, v3
	s_nop 0
	v_cndmask_b32_e32 v4, v10, v4, vcc
	v_and_b32_e32 v10, 7, v4
	v_cmp_lt_i32_e32 vcc, 5, v10
	v_cmp_eq_u32_e64 s[0:1], 3, v10
	v_lshrrev_b32_e32 v4, 2, v4
	s_or_b64 vcc, s[0:1], vcc
	v_addc_co_u32_e32 v4, vcc, 0, v4, vcc
	v_cmp_gt_i32_e32 vcc, 31, v5
	v_mad_u64_u32 v[0:1], s[0:1], s8, 20, v[0:1]
	s_nop 0
	v_cndmask_b32_e32 v4, v6, v4, vcc
	v_cmp_ne_u32_e32 vcc, 0, v2
	v_add_u32_e32 v1, s3, v1
	s_nop 0
	v_cndmask_b32_e64 v2, 0, 1, vcc
	v_lshl_or_b32 v2, v2, 9, v6
	v_cmp_eq_u32_e32 vcc, s15, v5
	s_nop 1
	v_cndmask_b32_e32 v2, v4, v2, vcc
	ds_read2_b32 v[4:5], v7 offset0:55 offset1:60
	v_and_or_b32 v2, v3, s16, v2
	v_bitop3_b32 v3, v9, s2, v8 bitop3:0xc8
	v_lshl_or_b32 v2, v2, 16, v3
	global_store_dword v[0:1], v2, off
	s_waitcnt lgkmcnt(0)
	v_lshrrev_b32_e32 v7, 16, v4
	s_waitcnt vmcnt(5)
	v_mul_f16_sdwa v3, v7, v15 dst_sel:DWORD dst_unused:UNUSED_PAD src0_sel:DWORD src1_sel:WORD_1
	v_fma_f16 v3, v4, v15, v3
	v_cvt_f32_f16_e32 v3, v3
	v_mul_f16_sdwa v4, v4, v15 dst_sel:DWORD dst_unused:UNUSED_PAD src0_sel:DWORD src1_sel:WORD_1
	v_fma_f16 v4, v15, v7, -v4
	v_cvt_f32_f16_e32 v4, v4
	v_cvt_f64_f32_e32 v[2:3], v3
	v_mul_f64 v[2:3], v[2:3], s[6:7]
	v_and_or_b32 v2, v3, s10, v2
	v_cmp_ne_u32_e32 vcc, 0, v2
	v_lshrrev_b32_e32 v8, 8, v3
	v_bfe_u32 v9, v3, 20, 11
	v_cndmask_b32_e64 v2, 0, 1, vcc
	v_and_or_b32 v2, v8, s14, v2
	v_sub_u32_e32 v10, 0x3f1, v9
	v_or_b32_e32 v8, 0x1000, v2
	v_med3_i32 v10, v10, 0, 13
	v_lshrrev_b32_e32 v11, v10, v8
	v_lshlrev_b32_e32 v10, v10, v11
	v_cmp_ne_u32_e32 vcc, v10, v8
	v_add_u32_e32 v9, 0xfffffc10, v9
	v_lshl_or_b32 v10, v9, 12, v2
	v_cndmask_b32_e64 v8, 0, 1, vcc
	v_or_b32_e32 v8, v11, v8
	v_cmp_gt_i32_e32 vcc, 1, v9
	s_nop 1
	v_cndmask_b32_e32 v8, v10, v8, vcc
	v_and_b32_e32 v10, 7, v8
	v_cmp_lt_i32_e32 vcc, 5, v10
	v_cmp_eq_u32_e64 s[0:1], 3, v10
	v_lshrrev_b32_e32 v8, 2, v8
	s_or_b64 vcc, s[0:1], vcc
	v_addc_co_u32_e32 v8, vcc, 0, v8, vcc
	v_cmp_gt_i32_e32 vcc, 31, v9
	s_nop 1
	v_cndmask_b32_e32 v8, v6, v8, vcc
	v_cmp_ne_u32_e32 vcc, 0, v2
	s_nop 1
	v_cndmask_b32_e64 v2, 0, 1, vcc
	v_lshl_or_b32 v2, v2, 9, v6
	v_cmp_eq_u32_e32 vcc, s15, v9
	s_nop 1
	v_cndmask_b32_e32 v7, v8, v2, vcc
	v_and_b32_sdwa v8, v3, s16 dst_sel:DWORD dst_unused:UNUSED_PAD src0_sel:WORD_1 src1_sel:DWORD
	v_cvt_f64_f32_e32 v[2:3], v4
	v_mul_f64 v[2:3], v[2:3], s[6:7]
	v_and_or_b32 v2, v3, s10, v2
	v_cmp_ne_u32_e32 vcc, 0, v2
	v_lshrrev_b32_e32 v4, 8, v3
	v_bfe_u32 v9, v3, 20, 11
	v_cndmask_b32_e64 v2, 0, 1, vcc
	v_and_or_b32 v2, v4, s14, v2
	v_sub_u32_e32 v10, 0x3f1, v9
	v_or_b32_e32 v4, 0x1000, v2
	v_med3_i32 v10, v10, 0, 13
	v_lshrrev_b32_e32 v11, v10, v4
	v_lshlrev_b32_e32 v10, v10, v11
	v_cmp_ne_u32_e32 vcc, v10, v4
	v_add_u32_e32 v9, 0xfffffc10, v9
	v_lshl_or_b32 v10, v9, 12, v2
	v_cndmask_b32_e64 v4, 0, 1, vcc
	v_or_b32_e32 v4, v11, v4
	v_cmp_gt_i32_e32 vcc, 1, v9
	v_lshrrev_b32_e32 v3, 16, v3
	s_nop 0
	v_cndmask_b32_e32 v4, v10, v4, vcc
	v_and_b32_e32 v10, 7, v4
	v_cmp_lt_i32_e32 vcc, 5, v10
	v_cmp_eq_u32_e64 s[0:1], 3, v10
	v_lshrrev_b32_e32 v4, 2, v4
	s_or_b64 vcc, s[0:1], vcc
	v_addc_co_u32_e32 v4, vcc, 0, v4, vcc
	v_cmp_gt_i32_e32 vcc, 31, v9
	v_mad_u64_u32 v[0:1], s[0:1], s8, 20, v[0:1]
	s_nop 0
	v_cndmask_b32_e32 v4, v6, v4, vcc
	v_cmp_ne_u32_e32 vcc, 0, v2
	v_add_u32_e32 v1, s3, v1
	s_nop 0
	v_cndmask_b32_e64 v2, 0, 1, vcc
	v_lshl_or_b32 v2, v2, 9, v6
	v_cmp_eq_u32_e32 vcc, s15, v9
	s_nop 1
	v_cndmask_b32_e32 v2, v4, v2, vcc
	v_and_or_b32 v2, v3, s16, v2
	v_bitop3_b32 v3, v8, s2, v7 bitop3:0xc8
	v_lshrrev_b32_e32 v4, 16, v5
	v_lshl_or_b32 v2, v2, 16, v3
	s_waitcnt vmcnt(4)
	v_mul_f16_sdwa v3, v4, v16 dst_sel:DWORD dst_unused:UNUSED_PAD src0_sel:DWORD src1_sel:WORD_1
	v_fma_f16 v3, v5, v16, v3
	v_cvt_f32_f16_e32 v3, v3
	global_store_dword v[0:1], v2, off
	v_mul_f16_sdwa v5, v5, v16 dst_sel:DWORD dst_unused:UNUSED_PAD src0_sel:DWORD src1_sel:WORD_1
	v_fma_f16 v4, v16, v4, -v5
	v_cvt_f64_f32_e32 v[2:3], v3
	v_mul_f64 v[2:3], v[2:3], s[6:7]
	v_and_or_b32 v2, v3, s10, v2
	v_cmp_ne_u32_e32 vcc, 0, v2
	v_lshrrev_b32_e32 v7, 8, v3
	v_bfe_u32 v8, v3, 20, 11
	v_cndmask_b32_e64 v2, 0, 1, vcc
	v_and_or_b32 v2, v7, s14, v2
	v_sub_u32_e32 v9, 0x3f1, v8
	v_or_b32_e32 v7, 0x1000, v2
	v_med3_i32 v9, v9, 0, 13
	v_lshrrev_b32_e32 v10, v9, v7
	v_lshlrev_b32_e32 v9, v9, v10
	v_cmp_ne_u32_e32 vcc, v9, v7
	v_add_u32_e32 v8, 0xfffffc10, v8
	v_lshl_or_b32 v9, v8, 12, v2
	v_cndmask_b32_e64 v7, 0, 1, vcc
	v_or_b32_e32 v7, v10, v7
	v_cmp_gt_i32_e32 vcc, 1, v8
	v_cvt_f32_f16_e32 v4, v4
	s_nop 0
	v_cndmask_b32_e32 v7, v9, v7, vcc
	v_and_b32_e32 v9, 7, v7
	v_cmp_lt_i32_e32 vcc, 5, v9
	v_cmp_eq_u32_e64 s[0:1], 3, v9
	v_lshrrev_b32_e32 v7, 2, v7
	s_or_b64 vcc, s[0:1], vcc
	v_addc_co_u32_e32 v7, vcc, 0, v7, vcc
	v_cmp_gt_i32_e32 vcc, 31, v8
	s_nop 1
	v_cndmask_b32_e32 v7, v6, v7, vcc
	v_cmp_ne_u32_e32 vcc, 0, v2
	s_nop 1
	v_cndmask_b32_e64 v2, 0, 1, vcc
	v_lshl_or_b32 v2, v2, 9, v6
	v_cmp_eq_u32_e32 vcc, s15, v8
	s_nop 1
	v_cndmask_b32_e32 v5, v7, v2, vcc
	v_and_b32_sdwa v7, v3, s16 dst_sel:DWORD dst_unused:UNUSED_PAD src0_sel:WORD_1 src1_sel:DWORD
	v_cvt_f64_f32_e32 v[2:3], v4
	v_mul_f64 v[2:3], v[2:3], s[6:7]
	v_and_or_b32 v2, v3, s10, v2
	v_cmp_ne_u32_e32 vcc, 0, v2
	v_lshrrev_b32_e32 v4, 8, v3
	v_bfe_u32 v8, v3, 20, 11
	v_cndmask_b32_e64 v2, 0, 1, vcc
	v_and_or_b32 v2, v4, s14, v2
	v_sub_u32_e32 v9, 0x3f1, v8
	v_or_b32_e32 v4, 0x1000, v2
	v_med3_i32 v9, v9, 0, 13
	v_lshrrev_b32_e32 v10, v9, v4
	v_lshlrev_b32_e32 v9, v9, v10
	v_cmp_ne_u32_e32 vcc, v9, v4
	v_add_u32_e32 v8, 0xfffffc10, v8
	v_lshl_or_b32 v9, v8, 12, v2
	v_cndmask_b32_e64 v4, 0, 1, vcc
	v_or_b32_e32 v4, v10, v4
	v_cmp_gt_i32_e32 vcc, 1, v8
	v_lshrrev_b32_e32 v3, 16, v3
	s_nop 0
	v_cndmask_b32_e32 v4, v9, v4, vcc
	v_and_b32_e32 v9, 7, v4
	v_cmp_lt_i32_e32 vcc, 5, v9
	v_cmp_eq_u32_e64 s[0:1], 3, v9
	v_lshrrev_b32_e32 v4, 2, v4
	s_or_b64 vcc, s[0:1], vcc
	v_addc_co_u32_e32 v4, vcc, 0, v4, vcc
	v_cmp_gt_i32_e32 vcc, 31, v8
	v_mad_u64_u32 v[0:1], s[0:1], s8, 20, v[0:1]
	s_nop 0
	v_cndmask_b32_e32 v4, v6, v4, vcc
	v_cmp_ne_u32_e32 vcc, 0, v2
	v_add_u32_e32 v1, s3, v1
	s_nop 0
	v_cndmask_b32_e64 v2, 0, 1, vcc
	v_lshl_or_b32 v2, v2, 9, v6
	v_cmp_eq_u32_e32 vcc, s15, v8
	s_nop 1
	v_cndmask_b32_e32 v2, v4, v2, vcc
	v_and_or_b32 v2, v3, s16, v2
	v_bitop3_b32 v3, v7, s2, v5 bitop3:0xc8
	v_lshl_or_b32 v2, v2, 16, v3
	global_store_dword v[0:1], v2, off
.LBB0_15:
	s_endpgm
	.section	.rodata,"a",@progbits
	.p2align	6, 0x0
	.amdhsa_kernel bluestein_single_fwd_len65_dim1_half_op_CI_CI
		.amdhsa_group_segment_fixed_size 4940
		.amdhsa_private_segment_fixed_size 0
		.amdhsa_kernarg_size 104
		.amdhsa_user_sgpr_count 2
		.amdhsa_user_sgpr_dispatch_ptr 0
		.amdhsa_user_sgpr_queue_ptr 0
		.amdhsa_user_sgpr_kernarg_segment_ptr 1
		.amdhsa_user_sgpr_dispatch_id 0
		.amdhsa_user_sgpr_kernarg_preload_length 0
		.amdhsa_user_sgpr_kernarg_preload_offset 0
		.amdhsa_user_sgpr_private_segment_size 0
		.amdhsa_uses_dynamic_stack 0
		.amdhsa_enable_private_segment 0
		.amdhsa_system_sgpr_workgroup_id_x 1
		.amdhsa_system_sgpr_workgroup_id_y 0
		.amdhsa_system_sgpr_workgroup_id_z 0
		.amdhsa_system_sgpr_workgroup_info 0
		.amdhsa_system_vgpr_workitem_id 0
		.amdhsa_next_free_vgpr 128
		.amdhsa_next_free_sgpr 28
		.amdhsa_accum_offset 128
		.amdhsa_reserve_vcc 1
		.amdhsa_float_round_mode_32 0
		.amdhsa_float_round_mode_16_64 0
		.amdhsa_float_denorm_mode_32 3
		.amdhsa_float_denorm_mode_16_64 3
		.amdhsa_dx10_clamp 1
		.amdhsa_ieee_mode 1
		.amdhsa_fp16_overflow 0
		.amdhsa_tg_split 0
		.amdhsa_exception_fp_ieee_invalid_op 0
		.amdhsa_exception_fp_denorm_src 0
		.amdhsa_exception_fp_ieee_div_zero 0
		.amdhsa_exception_fp_ieee_overflow 0
		.amdhsa_exception_fp_ieee_underflow 0
		.amdhsa_exception_fp_ieee_inexact 0
		.amdhsa_exception_int_div_zero 0
	.end_amdhsa_kernel
	.text
.Lfunc_end0:
	.size	bluestein_single_fwd_len65_dim1_half_op_CI_CI, .Lfunc_end0-bluestein_single_fwd_len65_dim1_half_op_CI_CI
                                        ; -- End function
	.section	.AMDGPU.csdata,"",@progbits
; Kernel info:
; codeLenInByte = 16716
; NumSgprs: 34
; NumVgprs: 128
; NumAgprs: 0
; TotalNumVgprs: 128
; ScratchSize: 0
; MemoryBound: 0
; FloatMode: 240
; IeeeMode: 1
; LDSByteSize: 4940 bytes/workgroup (compile time only)
; SGPRBlocks: 4
; VGPRBlocks: 15
; NumSGPRsForWavesPerEU: 34
; NumVGPRsForWavesPerEU: 128
; AccumOffset: 128
; Occupancy: 4
; WaveLimiterHint : 1
; COMPUTE_PGM_RSRC2:SCRATCH_EN: 0
; COMPUTE_PGM_RSRC2:USER_SGPR: 2
; COMPUTE_PGM_RSRC2:TRAP_HANDLER: 0
; COMPUTE_PGM_RSRC2:TGID_X_EN: 1
; COMPUTE_PGM_RSRC2:TGID_Y_EN: 0
; COMPUTE_PGM_RSRC2:TGID_Z_EN: 0
; COMPUTE_PGM_RSRC2:TIDIG_COMP_CNT: 0
; COMPUTE_PGM_RSRC3_GFX90A:ACCUM_OFFSET: 31
; COMPUTE_PGM_RSRC3_GFX90A:TG_SPLIT: 0
	.text
	.p2alignl 6, 3212836864
	.fill 256, 4, 3212836864
	.type	__hip_cuid_80cf8685a21abfee,@object ; @__hip_cuid_80cf8685a21abfee
	.section	.bss,"aw",@nobits
	.globl	__hip_cuid_80cf8685a21abfee
__hip_cuid_80cf8685a21abfee:
	.byte	0                               ; 0x0
	.size	__hip_cuid_80cf8685a21abfee, 1

	.ident	"AMD clang version 19.0.0git (https://github.com/RadeonOpenCompute/llvm-project roc-6.4.0 25133 c7fe45cf4b819c5991fe208aaa96edf142730f1d)"
	.section	".note.GNU-stack","",@progbits
	.addrsig
	.addrsig_sym __hip_cuid_80cf8685a21abfee
	.amdgpu_metadata
---
amdhsa.kernels:
  - .agpr_count:     0
    .args:
      - .actual_access:  read_only
        .address_space:  global
        .offset:         0
        .size:           8
        .value_kind:     global_buffer
      - .actual_access:  read_only
        .address_space:  global
        .offset:         8
        .size:           8
        .value_kind:     global_buffer
      - .actual_access:  read_only
        .address_space:  global
        .offset:         16
        .size:           8
        .value_kind:     global_buffer
      - .actual_access:  read_only
        .address_space:  global
        .offset:         24
        .size:           8
        .value_kind:     global_buffer
      - .actual_access:  read_only
        .address_space:  global
        .offset:         32
        .size:           8
        .value_kind:     global_buffer
      - .offset:         40
        .size:           8
        .value_kind:     by_value
      - .address_space:  global
        .offset:         48
        .size:           8
        .value_kind:     global_buffer
      - .address_space:  global
        .offset:         56
        .size:           8
        .value_kind:     global_buffer
      - .address_space:  global
        .offset:         64
        .size:           8
        .value_kind:     global_buffer
      - .address_space:  global
        .offset:         72
        .size:           8
        .value_kind:     global_buffer
      - .offset:         80
        .size:           4
        .value_kind:     by_value
      - .address_space:  global
        .offset:         88
        .size:           8
        .value_kind:     global_buffer
      - .address_space:  global
        .offset:         96
        .size:           8
        .value_kind:     global_buffer
    .group_segment_fixed_size: 4940
    .kernarg_segment_align: 8
    .kernarg_segment_size: 104
    .language:       OpenCL C
    .language_version:
      - 2
      - 0
    .max_flat_workgroup_size: 247
    .name:           bluestein_single_fwd_len65_dim1_half_op_CI_CI
    .private_segment_fixed_size: 0
    .sgpr_count:     34
    .sgpr_spill_count: 0
    .symbol:         bluestein_single_fwd_len65_dim1_half_op_CI_CI.kd
    .uniform_work_group_size: 1
    .uses_dynamic_stack: false
    .vgpr_count:     128
    .vgpr_spill_count: 0
    .wavefront_size: 64
amdhsa.target:   amdgcn-amd-amdhsa--gfx950
amdhsa.version:
  - 1
  - 2
...

	.end_amdgpu_metadata
